;; amdgpu-corpus repo=ROCm/rocFFT kind=compiled arch=gfx906 opt=O3
	.text
	.amdgcn_target "amdgcn-amd-amdhsa--gfx906"
	.amdhsa_code_object_version 6
	.protected	fft_rtc_back_len1680_factors_2_2_2_2_3_7_5_wgs_112_tpt_112_halfLds_dp_op_CI_CI_unitstride_sbrr_dirReg ; -- Begin function fft_rtc_back_len1680_factors_2_2_2_2_3_7_5_wgs_112_tpt_112_halfLds_dp_op_CI_CI_unitstride_sbrr_dirReg
	.globl	fft_rtc_back_len1680_factors_2_2_2_2_3_7_5_wgs_112_tpt_112_halfLds_dp_op_CI_CI_unitstride_sbrr_dirReg
	.p2align	8
	.type	fft_rtc_back_len1680_factors_2_2_2_2_3_7_5_wgs_112_tpt_112_halfLds_dp_op_CI_CI_unitstride_sbrr_dirReg,@function
fft_rtc_back_len1680_factors_2_2_2_2_3_7_5_wgs_112_tpt_112_halfLds_dp_op_CI_CI_unitstride_sbrr_dirReg: ; @fft_rtc_back_len1680_factors_2_2_2_2_3_7_5_wgs_112_tpt_112_halfLds_dp_op_CI_CI_unitstride_sbrr_dirReg
; %bb.0:
	s_load_dwordx4 s[8:11], s[4:5], 0x58
	s_load_dwordx4 s[12:15], s[4:5], 0x0
	;; [unrolled: 1-line block ×3, first 2 shown]
	v_mul_u32_u24_e32 v1, 0x24a, v0
	v_add_u32_sdwa v6, s6, v1 dst_sel:DWORD dst_unused:UNUSED_PAD src0_sel:DWORD src1_sel:WORD_1
	v_mov_b32_e32 v1, 0
	s_waitcnt lgkmcnt(0)
	v_cmp_lt_u64_e64 s[0:1], s[14:15], 2
	v_mov_b32_e32 v4, 0
	v_mov_b32_e32 v7, v1
	s_and_b64 vcc, exec, s[0:1]
	v_mov_b32_e32 v5, 0
	s_cbranch_vccnz .LBB0_8
; %bb.1:
	s_load_dwordx2 s[0:1], s[4:5], 0x10
	s_add_u32 s2, s18, 8
	s_addc_u32 s3, s19, 0
	s_add_u32 s6, s16, 8
	v_mov_b32_e32 v4, 0
	s_addc_u32 s7, s17, 0
	v_mov_b32_e32 v5, 0
	s_waitcnt lgkmcnt(0)
	s_add_u32 s20, s0, 8
	v_mov_b32_e32 v103, v5
	s_addc_u32 s21, s1, 0
	s_mov_b64 s[22:23], 1
	v_mov_b32_e32 v102, v4
.LBB0_2:                                ; =>This Inner Loop Header: Depth=1
	s_load_dwordx2 s[24:25], s[20:21], 0x0
                                        ; implicit-def: $vgpr104_vgpr105
	s_waitcnt lgkmcnt(0)
	v_or_b32_e32 v2, s25, v7
	v_cmp_ne_u64_e32 vcc, 0, v[1:2]
	s_and_saveexec_b64 s[0:1], vcc
	s_xor_b64 s[26:27], exec, s[0:1]
	s_cbranch_execz .LBB0_4
; %bb.3:                                ;   in Loop: Header=BB0_2 Depth=1
	v_cvt_f32_u32_e32 v2, s24
	v_cvt_f32_u32_e32 v3, s25
	s_sub_u32 s0, 0, s24
	s_subb_u32 s1, 0, s25
	v_mac_f32_e32 v2, 0x4f800000, v3
	v_rcp_f32_e32 v2, v2
	v_mul_f32_e32 v2, 0x5f7ffffc, v2
	v_mul_f32_e32 v3, 0x2f800000, v2
	v_trunc_f32_e32 v3, v3
	v_mac_f32_e32 v2, 0xcf800000, v3
	v_cvt_u32_f32_e32 v3, v3
	v_cvt_u32_f32_e32 v2, v2
	v_mul_lo_u32 v8, s0, v3
	v_mul_hi_u32 v9, s0, v2
	v_mul_lo_u32 v11, s1, v2
	v_mul_lo_u32 v10, s0, v2
	v_add_u32_e32 v8, v9, v8
	v_add_u32_e32 v8, v8, v11
	v_mul_hi_u32 v9, v2, v10
	v_mul_lo_u32 v11, v2, v8
	v_mul_hi_u32 v13, v2, v8
	v_mul_hi_u32 v12, v3, v10
	v_mul_lo_u32 v10, v3, v10
	v_mul_hi_u32 v14, v3, v8
	v_add_co_u32_e32 v9, vcc, v9, v11
	v_addc_co_u32_e32 v11, vcc, 0, v13, vcc
	v_mul_lo_u32 v8, v3, v8
	v_add_co_u32_e32 v9, vcc, v9, v10
	v_addc_co_u32_e32 v9, vcc, v11, v12, vcc
	v_addc_co_u32_e32 v10, vcc, 0, v14, vcc
	v_add_co_u32_e32 v8, vcc, v9, v8
	v_addc_co_u32_e32 v9, vcc, 0, v10, vcc
	v_add_co_u32_e32 v2, vcc, v2, v8
	v_addc_co_u32_e32 v3, vcc, v3, v9, vcc
	v_mul_lo_u32 v8, s0, v3
	v_mul_hi_u32 v9, s0, v2
	v_mul_lo_u32 v10, s1, v2
	v_mul_lo_u32 v11, s0, v2
	v_add_u32_e32 v8, v9, v8
	v_add_u32_e32 v8, v8, v10
	v_mul_lo_u32 v12, v2, v8
	v_mul_hi_u32 v13, v2, v11
	v_mul_hi_u32 v14, v2, v8
	v_mul_hi_u32 v10, v3, v11
	v_mul_lo_u32 v11, v3, v11
	v_mul_hi_u32 v9, v3, v8
	v_add_co_u32_e32 v12, vcc, v13, v12
	v_addc_co_u32_e32 v13, vcc, 0, v14, vcc
	v_mul_lo_u32 v8, v3, v8
	v_add_co_u32_e32 v11, vcc, v12, v11
	v_addc_co_u32_e32 v10, vcc, v13, v10, vcc
	v_addc_co_u32_e32 v9, vcc, 0, v9, vcc
	v_add_co_u32_e32 v8, vcc, v10, v8
	v_addc_co_u32_e32 v9, vcc, 0, v9, vcc
	v_add_co_u32_e32 v8, vcc, v2, v8
	v_addc_co_u32_e32 v9, vcc, v3, v9, vcc
	v_mad_u64_u32 v[2:3], s[0:1], v6, v9, 0
	v_mul_hi_u32 v10, v6, v8
	v_add_co_u32_e32 v10, vcc, v10, v2
	v_addc_co_u32_e32 v11, vcc, 0, v3, vcc
	v_mad_u64_u32 v[2:3], s[0:1], v7, v8, 0
	v_mad_u64_u32 v[8:9], s[0:1], v7, v9, 0
	v_add_co_u32_e32 v2, vcc, v10, v2
	v_addc_co_u32_e32 v2, vcc, v11, v3, vcc
	v_addc_co_u32_e32 v3, vcc, 0, v9, vcc
	v_add_co_u32_e32 v8, vcc, v2, v8
	v_addc_co_u32_e32 v9, vcc, 0, v3, vcc
	v_mul_lo_u32 v10, s25, v8
	v_mul_lo_u32 v11, s24, v9
	v_mad_u64_u32 v[2:3], s[0:1], s24, v8, 0
	v_add3_u32 v3, v3, v11, v10
	v_sub_u32_e32 v10, v7, v3
	v_mov_b32_e32 v11, s25
	v_sub_co_u32_e32 v2, vcc, v6, v2
	v_subb_co_u32_e64 v10, s[0:1], v10, v11, vcc
	v_subrev_co_u32_e64 v11, s[0:1], s24, v2
	v_subbrev_co_u32_e64 v10, s[0:1], 0, v10, s[0:1]
	v_cmp_le_u32_e64 s[0:1], s25, v10
	v_cndmask_b32_e64 v12, 0, -1, s[0:1]
	v_cmp_le_u32_e64 s[0:1], s24, v11
	v_cndmask_b32_e64 v11, 0, -1, s[0:1]
	v_cmp_eq_u32_e64 s[0:1], s25, v10
	v_cndmask_b32_e64 v10, v12, v11, s[0:1]
	v_add_co_u32_e64 v11, s[0:1], 2, v8
	v_addc_co_u32_e64 v12, s[0:1], 0, v9, s[0:1]
	v_add_co_u32_e64 v13, s[0:1], 1, v8
	v_addc_co_u32_e64 v14, s[0:1], 0, v9, s[0:1]
	v_subb_co_u32_e32 v3, vcc, v7, v3, vcc
	v_cmp_ne_u32_e64 s[0:1], 0, v10
	v_cmp_le_u32_e32 vcc, s25, v3
	v_cndmask_b32_e64 v10, v14, v12, s[0:1]
	v_cndmask_b32_e64 v12, 0, -1, vcc
	v_cmp_le_u32_e32 vcc, s24, v2
	v_cndmask_b32_e64 v2, 0, -1, vcc
	v_cmp_eq_u32_e32 vcc, s25, v3
	v_cndmask_b32_e32 v2, v12, v2, vcc
	v_cmp_ne_u32_e32 vcc, 0, v2
	v_cndmask_b32_e64 v2, v13, v11, s[0:1]
	v_cndmask_b32_e32 v105, v9, v10, vcc
	v_cndmask_b32_e32 v104, v8, v2, vcc
.LBB0_4:                                ;   in Loop: Header=BB0_2 Depth=1
	s_andn2_saveexec_b64 s[0:1], s[26:27]
	s_cbranch_execz .LBB0_6
; %bb.5:                                ;   in Loop: Header=BB0_2 Depth=1
	v_cvt_f32_u32_e32 v2, s24
	s_sub_i32 s26, 0, s24
	v_mov_b32_e32 v105, v1
	v_rcp_iflag_f32_e32 v2, v2
	v_mul_f32_e32 v2, 0x4f7ffffe, v2
	v_cvt_u32_f32_e32 v2, v2
	v_mul_lo_u32 v3, s26, v2
	v_mul_hi_u32 v3, v2, v3
	v_add_u32_e32 v2, v2, v3
	v_mul_hi_u32 v2, v6, v2
	v_mul_lo_u32 v3, v2, s24
	v_add_u32_e32 v8, 1, v2
	v_sub_u32_e32 v3, v6, v3
	v_subrev_u32_e32 v9, s24, v3
	v_cmp_le_u32_e32 vcc, s24, v3
	v_cndmask_b32_e32 v3, v3, v9, vcc
	v_cndmask_b32_e32 v2, v2, v8, vcc
	v_add_u32_e32 v8, 1, v2
	v_cmp_le_u32_e32 vcc, s24, v3
	v_cndmask_b32_e32 v104, v2, v8, vcc
.LBB0_6:                                ;   in Loop: Header=BB0_2 Depth=1
	s_or_b64 exec, exec, s[0:1]
	v_mul_lo_u32 v8, v105, s24
	v_mul_lo_u32 v9, v104, s25
	v_mad_u64_u32 v[2:3], s[0:1], v104, s24, 0
	s_load_dwordx2 s[0:1], s[6:7], 0x0
	s_load_dwordx2 s[24:25], s[2:3], 0x0
	v_add3_u32 v3, v3, v9, v8
	v_sub_co_u32_e32 v2, vcc, v6, v2
	v_subb_co_u32_e32 v3, vcc, v7, v3, vcc
	s_waitcnt lgkmcnt(0)
	v_mul_lo_u32 v6, s0, v3
	v_mul_lo_u32 v7, s1, v2
	v_mad_u64_u32 v[4:5], s[0:1], s0, v2, v[4:5]
	v_mul_lo_u32 v3, s24, v3
	v_mul_lo_u32 v8, s25, v2
	v_mad_u64_u32 v[102:103], s[0:1], s24, v2, v[102:103]
	s_add_u32 s22, s22, 1
	s_addc_u32 s23, s23, 0
	s_add_u32 s2, s2, 8
	v_add3_u32 v103, v8, v103, v3
	s_addc_u32 s3, s3, 0
	v_mov_b32_e32 v2, s14
	s_add_u32 s6, s6, 8
	v_mov_b32_e32 v3, s15
	s_addc_u32 s7, s7, 0
	v_cmp_ge_u64_e32 vcc, s[22:23], v[2:3]
	s_add_u32 s20, s20, 8
	v_add3_u32 v5, v7, v5, v6
	s_addc_u32 s21, s21, 0
	s_cbranch_vccnz .LBB0_9
; %bb.7:                                ;   in Loop: Header=BB0_2 Depth=1
	v_mov_b32_e32 v6, v104
	v_mov_b32_e32 v7, v105
	s_branch .LBB0_2
.LBB0_8:
	v_mov_b32_e32 v103, v5
	v_mov_b32_e32 v105, v7
	;; [unrolled: 1-line block ×4, first 2 shown]
.LBB0_9:
	s_load_dwordx2 s[4:5], s[4:5], 0x28
	s_lshl_b64 s[6:7], s[14:15], 3
	s_add_u32 s2, s18, s6
	s_addc_u32 s3, s19, s7
                                        ; implicit-def: $vgpr108
	s_waitcnt lgkmcnt(0)
	v_cmp_gt_u64_e64 s[0:1], s[4:5], v[104:105]
	v_cmp_le_u64_e32 vcc, s[4:5], v[104:105]
	s_and_saveexec_b64 s[4:5], vcc
	s_xor_b64 s[4:5], exec, s[4:5]
; %bb.10:
	s_mov_b32 s14, 0x2492493
	v_mul_hi_u32 v1, v0, s14
                                        ; implicit-def: $vgpr4_vgpr5
	v_mul_u32_u24_e32 v1, 0x70, v1
	v_sub_u32_e32 v108, v0, v1
                                        ; implicit-def: $vgpr0
; %bb.11:
	s_or_saveexec_b64 s[4:5], s[4:5]
	s_load_dwordx2 s[2:3], s[2:3], 0x0
                                        ; implicit-def: $vgpr58_vgpr59
                                        ; implicit-def: $vgpr54_vgpr55
                                        ; implicit-def: $vgpr30_vgpr31
                                        ; implicit-def: $vgpr18_vgpr19
                                        ; implicit-def: $vgpr46_vgpr47
                                        ; implicit-def: $vgpr22_vgpr23
                                        ; implicit-def: $vgpr50_vgpr51
                                        ; implicit-def: $vgpr26_vgpr27
                                        ; implicit-def: $vgpr14_vgpr15
                                        ; implicit-def: $vgpr2_vgpr3
                                        ; implicit-def: $vgpr6_vgpr7
                                        ; implicit-def: $vgpr34_vgpr35
                                        ; implicit-def: $vgpr10_vgpr11
                                        ; implicit-def: $vgpr38_vgpr39
                                        ; implicit-def: $vgpr64_vgpr65
                                        ; implicit-def: $vgpr42_vgpr43
	s_xor_b64 exec, exec, s[4:5]
	s_cbranch_execz .LBB0_15
; %bb.12:
	s_add_u32 s6, s16, s6
	s_addc_u32 s7, s17, s7
	s_load_dwordx2 s[6:7], s[6:7], 0x0
	s_mov_b32 s14, 0x2492493
	v_mul_hi_u32 v3, v0, s14
	s_waitcnt lgkmcnt(0)
	v_mul_lo_u32 v6, s7, v104
	v_mul_lo_u32 v7, s6, v105
	v_mad_u64_u32 v[1:2], s[6:7], s6, v104, 0
	v_mul_u32_u24_e32 v3, 0x70, v3
	v_sub_u32_e32 v108, v0, v3
	v_add3_u32 v2, v2, v7, v6
	v_lshlrev_b64 v[0:1], 4, v[1:2]
	v_mov_b32_e32 v2, s9
	v_add_co_u32_e32 v3, vcc, s8, v0
	v_addc_co_u32_e32 v2, vcc, v2, v1, vcc
	v_lshlrev_b64 v[0:1], 4, v[4:5]
	s_movk_i32 s6, 0x3000
	v_add_co_u32_e32 v0, vcc, v3, v0
	v_addc_co_u32_e32 v1, vcc, v2, v1, vcc
	v_lshlrev_b32_e32 v2, 4, v108
	v_add_co_u32_e32 v54, vcc, v0, v2
	v_addc_co_u32_e32 v55, vcc, 0, v1, vcc
	v_add_co_u32_e32 v52, vcc, s6, v54
	v_addc_co_u32_e32 v53, vcc, 0, v55, vcc
	s_movk_i32 s6, 0x4000
	v_add_co_u32_e32 v16, vcc, s6, v54
	v_addc_co_u32_e32 v17, vcc, 0, v55, vcc
	s_movk_i32 s6, 0x1000
	;; [unrolled: 3-line block ×4, first 2 shown]
	v_add_co_u32_e32 v60, vcc, s6, v54
	v_addc_co_u32_e32 v61, vcc, 0, v55, vcc
	global_load_dwordx4 v[8:11], v[52:53], off offset:2944
	global_load_dwordx4 v[4:7], v[16:17], off offset:640
	;; [unrolled: 1-line block ×5, first 2 shown]
	s_nop 0
	global_load_dwordx4 v[16:19], v[60:61], off offset:2560
	global_load_dwordx4 v[24:27], v[56:57], off offset:3072
	;; [unrolled: 1-line block ×5, first 2 shown]
	global_load_dwordx4 v[40:43], v[54:55], off
	global_load_dwordx4 v[36:39], v[54:55], off offset:1792
	global_load_dwordx4 v[62:65], v[52:53], off offset:1152
	;; [unrolled: 1-line block ×3, first 2 shown]
	v_cmp_gt_u32_e32 vcc, 56, v108
                                        ; implicit-def: $vgpr52_vgpr53
                                        ; implicit-def: $vgpr56_vgpr57
	s_and_saveexec_b64 s[6:7], vcc
	s_cbranch_execz .LBB0_14
; %bb.13:
	v_add_co_u32_e32 v60, vcc, 0x3000, v54
	v_addc_co_u32_e32 v61, vcc, 0, v55, vcc
	v_add_co_u32_e32 v66, vcc, 0x6000, v54
	v_addc_co_u32_e32 v67, vcc, 0, v55, vcc
	global_load_dwordx4 v[52:55], v[60:61], off offset:256
	global_load_dwordx4 v[56:59], v[66:67], off offset:1408
.LBB0_14:
	s_or_b64 exec, exec, s[6:7]
.LBB0_15:
	s_or_b64 exec, exec, s[4:5]
	s_waitcnt vmcnt(1)
	v_add_f64 v[62:63], v[40:41], -v[62:63]
	v_add_f64 v[68:69], v[36:37], -v[8:9]
	s_waitcnt vmcnt(0)
	v_add_f64 v[72:73], v[32:33], -v[4:5]
	v_lshl_add_u32 v9, v108, 4, 0
	v_add_u32_e32 v110, 0x70, v108
	v_add_u32_e32 v111, 0xe0, v108
	v_add_f64 v[76:77], v[0:1], -v[12:13]
	v_add_f64 v[80:81], v[24:25], -v[48:49]
	v_fma_f64 v[60:61], v[40:41], 2.0, -v[62:63]
	v_fma_f64 v[66:67], v[36:37], 2.0, -v[68:69]
	;; [unrolled: 1-line block ×3, first 2 shown]
	v_add_f64 v[84:85], v[20:21], -v[44:45]
	v_lshl_add_u32 v13, v110, 4, 0
	v_lshl_add_u32 v12, v111, 4, 0
	v_fma_f64 v[74:75], v[0:1], 2.0, -v[76:77]
	v_fma_f64 v[78:79], v[24:25], 2.0, -v[80:81]
	ds_write_b128 v9, v[60:63]
	ds_write_b128 v13, v[66:69]
	;; [unrolled: 1-line block ×3, first 2 shown]
	v_add_f64 v[68:69], v[16:17], -v[28:29]
	v_add_f64 v[62:63], v[52:53], -v[56:57]
	v_fma_f64 v[82:83], v[20:21], 2.0, -v[84:85]
	v_add_u32_e32 v112, 0x150, v108
	v_add_u32_e32 v113, 0x1c0, v108
	;; [unrolled: 1-line block ×5, first 2 shown]
	v_fma_f64 v[66:67], v[16:17], 2.0, -v[68:69]
	v_fma_f64 v[60:61], v[52:53], 2.0, -v[62:63]
	v_lshl_add_u32 v24, v112, 4, 0
	v_lshl_add_u32 v21, v113, 4, 0
	;; [unrolled: 1-line block ×4, first 2 shown]
	v_cmp_gt_u32_e32 vcc, 56, v108
	v_lshl_add_u32 v16, v8, 4, 0
	ds_write_b128 v24, v[74:77]
	ds_write_b128 v21, v[78:81]
	;; [unrolled: 1-line block ×4, first 2 shown]
	s_and_saveexec_b64 s[4:5], vcc
	s_cbranch_execz .LBB0_17
; %bb.16:
	ds_write_b128 v16, v[60:63]
.LBB0_17:
	s_or_b64 exec, exec, s[4:5]
	v_lshl_add_u32 v109, v108, 3, 0
	v_add_u32_e32 v4, 0x1400, v109
	s_waitcnt lgkmcnt(0)
	s_barrier
	ds_read2_b64 v[78:81], v4 offset0:32 offset1:200
	v_add_u32_e32 v4, 0x1c00, v109
	ds_read2_b64 v[66:69], v4 offset0:56 offset1:168
	v_add_u32_e32 v4, 0x400, v109
	;; [unrolled: 2-line block ×5, first 2 shown]
	ds_read2_b64 v[82:85], v109 offset1:112
	ds_read2_b64 v[74:77], v4 offset0:120 offset1:232
	s_and_saveexec_b64 s[4:5], vcc
	s_cbranch_execz .LBB0_19
; %bb.18:
	ds_read_b64 v[60:61], v109 offset:6272
	ds_read_b64 v[62:63], v109 offset:12992
.LBB0_19:
	s_or_b64 exec, exec, s[4:5]
	v_add_f64 v[32:33], v[42:43], -v[64:65]
	v_add_f64 v[44:45], v[2:3], -v[14:15]
	;; [unrolled: 1-line block ×8, first 2 shown]
	v_fma_f64 v[30:31], v[42:43], 2.0, -v[32:33]
	v_fma_f64 v[42:43], v[2:3], 2.0, -v[44:45]
	;; [unrolled: 1-line block ×8, first 2 shown]
	s_waitcnt lgkmcnt(0)
	s_barrier
	ds_write_b128 v9, v[30:33]
	ds_write_b128 v13, v[38:41]
	;; [unrolled: 1-line block ×7, first 2 shown]
	s_and_saveexec_b64 s[4:5], vcc
	s_cbranch_execz .LBB0_21
; %bb.20:
	ds_write_b128 v16, v[2:5]
.LBB0_21:
	s_or_b64 exec, exec, s[4:5]
	v_add_u32_e32 v6, 0x1400, v109
	s_waitcnt lgkmcnt(0)
	s_barrier
	ds_read2_b64 v[22:25], v6 offset0:32 offset1:200
	v_add_u32_e32 v6, 0x1c00, v109
	ds_read2_b64 v[42:45], v6 offset0:56 offset1:168
	v_add_u32_e32 v6, 0x400, v109
	;; [unrolled: 2-line block ×5, first 2 shown]
	ds_read2_b64 v[26:29], v109 offset1:112
	ds_read2_b64 v[94:97], v6 offset0:120 offset1:232
	v_lshlrev_b32_e32 v114, 1, v108
	v_lshlrev_b32_e32 v115, 1, v110
	;; [unrolled: 1-line block ×7, first 2 shown]
	s_and_saveexec_b64 s[4:5], vcc
	s_cbranch_execz .LBB0_23
; %bb.22:
	ds_read_b64 v[2:3], v109 offset:6272
	ds_read_b64 v[4:5], v109 offset:12992
.LBB0_23:
	s_or_b64 exec, exec, s[4:5]
	v_and_b32_e32 v58, 1, v108
	v_lshlrev_b32_e32 v0, 4, v58
	global_load_dwordx4 v[98:101], v0, s[12:13]
	s_movk_i32 s4, 0xfc
	s_movk_i32 s5, 0x1fc
	s_movk_i32 s6, 0x3fc
	v_and_or_b32 v0, v114, s4, v58
	v_and_or_b32 v1, v115, s5, v58
	s_movk_i32 s7, 0x7fc
	s_movk_i32 s8, 0x5fc
	v_and_or_b32 v6, v116, s6, v58
	v_and_or_b32 v7, v118, s6, v58
	v_lshl_add_u32 v59, v0, 3, 0
	v_lshl_add_u32 v64, v1, 3, 0
	v_and_or_b32 v9, v119, s7, v58
	v_and_or_b32 v10, v120, s8, v58
	v_lshl_add_u32 v65, v6, 3, 0
	v_lshl_add_u32 v121, v7, 3, 0
	v_and_or_b32 v11, v117, s7, v58
	v_lshl_add_u32 v122, v9, 3, 0
	v_lshl_add_u32 v123, v10, 3, 0
	;; [unrolled: 1-line block ×3, first 2 shown]
	s_waitcnt vmcnt(0) lgkmcnt(0)
	s_barrier
	v_mul_f64 v[0:1], v[24:25], v[100:101]
	v_mul_f64 v[19:20], v[4:5], v[100:101]
	;; [unrolled: 1-line block ×8, first 2 shown]
	v_fma_f64 v[0:1], v[80:81], v[98:99], v[0:1]
	v_fma_f64 v[19:20], v[62:63], v[98:99], v[19:20]
	;; [unrolled: 1-line block ×8, first 2 shown]
	v_add_f64 v[30:31], v[82:83], -v[0:1]
	v_add_f64 v[106:107], v[60:61], -v[19:20]
	;; [unrolled: 1-line block ×8, first 2 shown]
	v_fma_f64 v[19:20], v[82:83], 2.0, -v[30:31]
	v_fma_f64 v[0:1], v[60:61], 2.0, -v[106:107]
	;; [unrolled: 1-line block ×8, first 2 shown]
	v_lshlrev_b32_e32 v84, 1, v8
	ds_write2_b64 v59, v[19:20], v[30:31] offset1:2
	ds_write2_b64 v64, v[32:33], v[6:7] offset1:2
	;; [unrolled: 1-line block ×7, first 2 shown]
	s_and_saveexec_b64 s[4:5], vcc
	s_cbranch_execz .LBB0_25
; %bb.24:
	s_movk_i32 s6, 0x6fc
	v_and_or_b32 v6, v84, s6, v58
	v_lshl_add_u32 v6, v6, 3, 0
	ds_write2_b64 v6, v[0:1], v[106:107] offset1:2
.LBB0_25:
	s_or_b64 exec, exec, s[4:5]
	v_add_u32_e32 v6, 0x1400, v109
	v_add_u32_e32 v10, 0x400, v109
	;; [unrolled: 1-line block ×3, first 2 shown]
	s_waitcnt lgkmcnt(0)
	s_barrier
	ds_read2_b64 v[18:21], v6 offset0:32 offset1:200
	v_add_u32_e32 v6, 0x1c00, v109
	ds_read2_b64 v[46:49], v10 offset0:96 offset1:208
	v_add_u32_e32 v10, 0x2400, v109
	;; [unrolled: 2-line block ×3, first 2 shown]
	ds_read2_b64 v[30:33], v109 offset1:112
	ds_read2_b64 v[6:9], v6 offset0:56 offset1:168
	ds_read2_b64 v[10:13], v10 offset0:24 offset1:136
	ds_read2_b64 v[14:17], v14 offset0:120 offset1:232
	s_and_saveexec_b64 s[4:5], vcc
	s_cbranch_execz .LBB0_27
; %bb.26:
	ds_read_b64 v[0:1], v109 offset:6272
	ds_read_b64 v[106:107], v109 offset:12992
.LBB0_27:
	s_or_b64 exec, exec, s[4:5]
	v_mul_f64 v[60:61], v[80:81], v[100:101]
	v_mul_f64 v[62:63], v[62:63], v[100:101]
	;; [unrolled: 1-line block ×8, first 2 shown]
	v_fma_f64 v[24:25], v[24:25], v[98:99], -v[60:61]
	v_fma_f64 v[4:5], v[4:5], v[98:99], -v[62:63]
	;; [unrolled: 1-line block ×8, first 2 shown]
	v_add_f64 v[24:25], v[26:27], -v[24:25]
	v_add_f64 v[82:83], v[2:3], -v[4:5]
	;; [unrolled: 1-line block ×8, first 2 shown]
	v_fma_f64 v[4:5], v[26:27], 2.0, -v[24:25]
	v_fma_f64 v[80:81], v[2:3], 2.0, -v[82:83]
	v_fma_f64 v[26:27], v[28:29], 2.0, -v[42:43]
	v_fma_f64 v[28:29], v[34:35], 2.0, -v[44:45]
	v_fma_f64 v[34:35], v[36:37], 2.0, -v[54:55]
	v_fma_f64 v[36:37], v[38:39], 2.0, -v[56:57]
	v_fma_f64 v[38:39], v[40:41], 2.0, -v[60:61]
	v_fma_f64 v[22:23], v[22:23], 2.0, -v[62:63]
	s_waitcnt lgkmcnt(0)
	s_barrier
	ds_write2_b64 v59, v[4:5], v[24:25] offset1:2
	ds_write2_b64 v64, v[26:27], v[42:43] offset1:2
	;; [unrolled: 1-line block ×7, first 2 shown]
	s_and_saveexec_b64 s[4:5], vcc
	s_cbranch_execz .LBB0_29
; %bb.28:
	s_movk_i32 s6, 0x6fc
	v_and_or_b32 v2, v84, s6, v58
	v_lshl_add_u32 v2, v2, 3, 0
	ds_write2_b64 v2, v[80:81], v[82:83] offset1:2
.LBB0_29:
	s_or_b64 exec, exec, s[4:5]
	v_add_u32_e32 v2, 0x1400, v109
	s_waitcnt lgkmcnt(0)
	s_barrier
	ds_read2_b64 v[34:37], v2 offset0:32 offset1:200
	v_add_u32_e32 v2, 0x1c00, v109
	ds_read2_b64 v[62:65], v2 offset0:56 offset1:168
	v_add_u32_e32 v2, 0x400, v109
	;; [unrolled: 2-line block ×5, first 2 shown]
	ds_read2_b64 v[42:45], v109 offset1:112
	ds_read2_b64 v[70:73], v2 offset0:120 offset1:232
	s_and_saveexec_b64 s[4:5], vcc
	s_cbranch_execz .LBB0_31
; %bb.30:
	ds_read_b64 v[80:81], v109 offset:6272
	ds_read_b64 v[82:83], v109 offset:12992
.LBB0_31:
	s_or_b64 exec, exec, s[4:5]
	v_and_b32_e32 v85, 3, v108
	v_lshlrev_b32_e32 v2, 4, v85
	global_load_dwordx4 v[74:77], v2, s[12:13] offset:32
	s_movk_i32 s4, 0xf8
	s_movk_i32 s5, 0x1f8
	;; [unrolled: 1-line block ×3, first 2 shown]
	v_and_or_b32 v2, v114, s4, v85
	v_and_or_b32 v3, v115, s5, v85
	;; [unrolled: 1-line block ×4, first 2 shown]
	s_movk_i32 s7, 0x7f8
	s_movk_i32 s8, 0x5f8
	v_lshl_add_u32 v86, v2, 3, 0
	v_lshl_add_u32 v87, v3, 3, 0
	;; [unrolled: 1-line block ×4, first 2 shown]
	v_and_or_b32 v22, v119, s7, v85
	v_and_or_b32 v23, v120, s8, v85
	;; [unrolled: 1-line block ×3, first 2 shown]
	v_lshl_add_u32 v90, v22, 3, 0
	v_lshl_add_u32 v91, v23, 3, 0
	;; [unrolled: 1-line block ×3, first 2 shown]
	s_waitcnt vmcnt(0) lgkmcnt(0)
	s_barrier
	v_mul_f64 v[2:3], v[36:37], v[76:77]
	v_mul_f64 v[4:5], v[62:63], v[76:77]
	;; [unrolled: 1-line block ×8, first 2 shown]
	v_fma_f64 v[2:3], v[20:21], v[74:75], v[2:3]
	v_fma_f64 v[4:5], v[6:7], v[74:75], v[4:5]
	;; [unrolled: 1-line block ×8, first 2 shown]
	v_add_f64 v[2:3], v[30:31], -v[2:3]
	v_add_f64 v[93:94], v[32:33], -v[4:5]
	;; [unrolled: 1-line block ×8, first 2 shown]
	v_fma_f64 v[30:31], v[30:31], 2.0, -v[2:3]
	v_fma_f64 v[32:33], v[32:33], 2.0, -v[93:94]
	;; [unrolled: 1-line block ×8, first 2 shown]
	ds_write2_b64 v86, v[30:31], v[2:3] offset1:4
	ds_write2_b64 v87, v[32:33], v[93:94] offset1:4
	;; [unrolled: 1-line block ×7, first 2 shown]
	s_and_saveexec_b64 s[4:5], vcc
	s_cbranch_execz .LBB0_33
; %bb.32:
	s_movk_i32 s6, 0x6f8
	v_and_or_b32 v0, v84, s6, v85
	v_lshl_add_u32 v0, v0, 3, 0
	ds_write2_b64 v0, v[78:79], v[4:5] offset1:4
.LBB0_33:
	s_or_b64 exec, exec, s[4:5]
	v_add_u32_e32 v18, 0x400, v109
	s_waitcnt lgkmcnt(0)
	s_barrier
	ds_read2_b64 v[46:49], v18 offset0:96 offset1:208
	v_add_u32_e32 v18, 0x2400, v109
	v_add_u32_e32 v0, 0x1400, v109
	ds_read2_b64 v[22:25], v18 offset0:24 offset1:136
	v_add_u32_e32 v18, 0xc00, v109
	ds_read2_b64 v[30:33], v0 offset0:32 offset1:200
	;; [unrolled: 2-line block ×3, first 2 shown]
	v_add_u32_e32 v18, 0x2800, v109
	ds_read2_b64 v[38:41], v109 offset1:112
	ds_read2_b64 v[0:3], v0 offset0:56 offset1:168
	ds_read2_b64 v[26:29], v18 offset0:120 offset1:232
	s_and_saveexec_b64 s[4:5], vcc
	s_cbranch_execz .LBB0_35
; %bb.34:
	ds_read_b64 v[78:79], v109 offset:6272
	ds_read_b64 v[4:5], v109 offset:12992
.LBB0_35:
	s_or_b64 exec, exec, s[4:5]
	v_mul_f64 v[18:19], v[20:21], v[76:77]
	v_mul_f64 v[20:21], v[106:107], v[76:77]
	;; [unrolled: 1-line block ×8, first 2 shown]
	v_fma_f64 v[18:19], v[36:37], v[74:75], -v[18:19]
	v_fma_f64 v[20:21], v[82:83], v[74:75], -v[20:21]
	;; [unrolled: 1-line block ×8, first 2 shown]
	v_add_f64 v[18:19], v[42:43], -v[18:19]
	v_add_f64 v[20:21], v[80:81], -v[20:21]
	;; [unrolled: 1-line block ×8, first 2 shown]
	v_fma_f64 v[36:37], v[42:43], 2.0, -v[18:19]
	v_fma_f64 v[66:67], v[80:81], 2.0, -v[20:21]
	;; [unrolled: 1-line block ×8, first 2 shown]
	s_waitcnt lgkmcnt(0)
	s_barrier
	ds_write2_b64 v86, v[36:37], v[18:19] offset1:4
	ds_write2_b64 v87, v[42:43], v[6:7] offset1:4
	;; [unrolled: 1-line block ×7, first 2 shown]
	s_and_saveexec_b64 s[4:5], vcc
	s_cbranch_execz .LBB0_37
; %bb.36:
	s_movk_i32 s6, 0x6f8
	v_and_or_b32 v6, v84, s6, v85
	v_lshl_add_u32 v6, v6, 3, 0
	ds_write2_b64 v6, v[66:67], v[20:21] offset1:4
.LBB0_37:
	s_or_b64 exec, exec, s[4:5]
	v_add_u32_e32 v6, 0x1400, v109
	s_waitcnt lgkmcnt(0)
	s_barrier
	ds_read2_b64 v[8:11], v6 offset0:32 offset1:200
	v_add_u32_e32 v6, 0x1c00, v109
	ds_read2_b64 v[42:45], v6 offset0:56 offset1:168
	v_add_u32_e32 v6, 0x400, v109
	;; [unrolled: 2-line block ×5, first 2 shown]
	ds_read2_b64 v[12:15], v109 offset1:112
	ds_read2_b64 v[58:61], v6 offset0:120 offset1:232
	s_and_saveexec_b64 s[4:5], vcc
	s_cbranch_execz .LBB0_39
; %bb.38:
	ds_read_b64 v[66:67], v109 offset:6272
	ds_read_b64 v[20:21], v109 offset:12992
.LBB0_39:
	s_or_b64 exec, exec, s[4:5]
	v_and_b32_e32 v68, 7, v108
	v_lshlrev_b32_e32 v6, 4, v68
	global_load_dwordx4 v[62:65], v6, s[12:13] offset:96
	s_movk_i32 s4, 0xf0
	s_movk_i32 s5, 0x1f0
	v_and_or_b32 v6, v114, s4, v68
	v_and_or_b32 v7, v115, s5, v68
	v_lshl_add_u32 v69, v6, 3, 0
	v_lshl_add_u32 v70, v7, 3, 0
	s_movk_i32 s6, 0x3f0
	s_movk_i32 s7, 0x7f0
	;; [unrolled: 1-line block ×3, first 2 shown]
	v_and_or_b32 v71, v116, s6, v68
	v_and_or_b32 v72, v118, s6, v68
	;; [unrolled: 1-line block ×5, first 2 shown]
	v_lshl_add_u32 v71, v71, 3, 0
	v_lshl_add_u32 v72, v72, 3, 0
	;; [unrolled: 1-line block ×5, first 2 shown]
	s_waitcnt vmcnt(0) lgkmcnt(0)
	s_barrier
	v_mul_f64 v[6:7], v[10:11], v[64:65]
	v_mul_f64 v[76:77], v[42:43], v[64:65]
	;; [unrolled: 1-line block ×8, first 2 shown]
	v_fma_f64 v[6:7], v[32:33], v[62:63], v[6:7]
	v_fma_f64 v[76:77], v[0:1], v[62:63], v[76:77]
	;; [unrolled: 1-line block ×7, first 2 shown]
	v_add_f64 v[93:94], v[38:39], -v[6:7]
	v_fma_f64 v[6:7], v[4:5], v[62:63], v[91:92]
	v_add_f64 v[76:77], v[40:41], -v[76:77]
	v_add_f64 v[80:81], v[46:47], -v[80:81]
	;; [unrolled: 1-line block ×6, first 2 shown]
	v_fma_f64 v[38:39], v[38:39], 2.0, -v[93:94]
	v_add_f64 v[6:7], v[78:79], -v[6:7]
	v_fma_f64 v[40:41], v[40:41], 2.0, -v[76:77]
	v_fma_f64 v[46:47], v[46:47], 2.0, -v[80:81]
	;; [unrolled: 1-line block ×6, first 2 shown]
	ds_write2_b64 v69, v[38:39], v[93:94] offset1:8
	ds_write2_b64 v70, v[40:41], v[76:77] offset1:8
	;; [unrolled: 1-line block ×7, first 2 shown]
	s_and_saveexec_b64 s[4:5], vcc
	s_cbranch_execz .LBB0_41
; %bb.40:
	v_fma_f64 v[30:31], v[78:79], 2.0, -v[6:7]
	s_movk_i32 s6, 0x6f0
	v_and_or_b32 v38, v84, s6, v68
	v_lshl_add_u32 v38, v38, 3, 0
	ds_write2_b64 v38, v[30:31], v[6:7] offset1:8
.LBB0_41:
	s_or_b64 exec, exec, s[4:5]
	v_mul_f64 v[30:31], v[32:33], v[64:65]
	v_mul_f64 v[0:1], v[0:1], v[64:65]
	;; [unrolled: 1-line block ×8, first 2 shown]
	v_fma_f64 v[10:11], v[10:11], v[62:63], -v[30:31]
	v_fma_f64 v[0:1], v[42:43], v[62:63], -v[0:1]
	v_fma_f64 v[2:3], v[44:45], v[62:63], -v[2:3]
	v_fma_f64 v[22:23], v[54:55], v[62:63], -v[22:23]
	v_fma_f64 v[24:25], v[56:57], v[62:63], -v[24:25]
	v_fma_f64 v[26:27], v[58:59], v[62:63], -v[26:27]
	v_fma_f64 v[28:29], v[60:61], v[62:63], -v[28:29]
	v_add_u32_e32 v40, 0xc00, v109
	v_add_f64 v[10:11], v[12:13], -v[10:11]
	v_add_f64 v[43:44], v[14:15], -v[0:1]
	v_fma_f64 v[0:1], v[20:21], v[62:63], -v[4:5]
	v_add_f64 v[45:46], v[16:17], -v[2:3]
	v_add_f64 v[47:48], v[18:19], -v[22:23]
	;; [unrolled: 1-line block ×5, first 2 shown]
	v_fma_f64 v[55:56], v[12:13], 2.0, -v[10:11]
	v_fma_f64 v[57:58], v[14:15], 2.0, -v[43:44]
	v_add_f64 v[2:3], v[66:67], -v[0:1]
	v_fma_f64 v[59:60], v[16:17], 2.0, -v[45:46]
	v_add_u32_e32 v4, 0x2000, v109
	v_add_u32_e32 v80, 0x1400, v109
	;; [unrolled: 1-line block ×5, first 2 shown]
	v_fma_f64 v[61:62], v[18:19], 2.0, -v[47:48]
	v_fma_f64 v[63:64], v[34:35], 2.0, -v[49:50]
	;; [unrolled: 1-line block ×3, first 2 shown]
	s_waitcnt lgkmcnt(0)
	s_barrier
	ds_read2_b64 v[16:19], v109 offset1:112
	ds_read2_b64 v[12:15], v40 offset0:64 offset1:176
	ds_read2_b64 v[36:39], v4 offset0:96 offset1:208
	;; [unrolled: 1-line block ×6, first 2 shown]
	ds_read_b64 v[0:1], v109 offset:12544
	v_fma_f64 v[8:9], v[8:9], 2.0, -v[53:54]
	s_waitcnt lgkmcnt(0)
	s_barrier
	ds_write2_b64 v69, v[55:56], v[10:11] offset1:8
	ds_write2_b64 v70, v[57:58], v[43:44] offset1:8
	;; [unrolled: 1-line block ×7, first 2 shown]
	s_and_saveexec_b64 s[4:5], vcc
	s_cbranch_execz .LBB0_43
; %bb.42:
	v_fma_f64 v[8:9], v[66:67], 2.0, -v[2:3]
	s_movk_i32 s6, 0x6f0
	v_and_or_b32 v10, v84, s6, v68
	v_lshl_add_u32 v10, v10, 3, 0
	ds_write2_b64 v10, v[8:9], v[2:3] offset1:8
.LBB0_43:
	s_or_b64 exec, exec, s[4:5]
	v_and_b32_e32 v136, 15, v108
	v_lshlrev_b32_e32 v8, 5, v136
	s_waitcnt lgkmcnt(0)
	s_barrier
	global_load_dwordx4 v[43:46], v8, s[12:13] offset:224
	global_load_dwordx4 v[98:101], v8, s[12:13] offset:240
	ds_read2_b64 v[52:55], v109 offset1:112
	ds_read2_b64 v[8:11], v40 offset0:64 offset1:176
	ds_read2_b64 v[56:59], v4 offset0:96 offset1:208
	;; [unrolled: 1-line block ×6, first 2 shown]
	ds_read_b64 v[4:5], v109 offset:12544
	v_lshrrev_b32_e32 v64, 4, v111
	v_lshrrev_b32_e32 v65, 4, v112
	v_mul_u32_u24_e32 v64, 48, v64
	v_mul_u32_u24_e32 v65, 48, v65
	v_or_b32_e32 v64, v64, v136
	v_or_b32_e32 v65, v65, v136
	v_lshl_add_u32 v95, v64, 3, 0
	v_lshl_add_u32 v94, v65, 3, 0
	v_lshrrev_b32_e32 v66, 4, v113
	v_mul_u32_u24_e32 v137, 48, v66
	v_lshrrev_b32_e32 v42, 4, v108
	v_mul_u32_u24_e32 v42, 48, v42
	v_lshrrev_b32_e32 v47, 4, v110
	v_or_b32_e32 v42, v42, v136
	v_mul_u32_u24_e32 v47, 48, v47
	v_lshl_add_u32 v97, v42, 3, 0
	v_or_b32_e32 v47, v47, v136
	v_lshl_add_u32 v96, v47, 3, 0
	s_mov_b32 s4, 0xe8584caa
	s_mov_b32 s5, 0xbfebb67a
	;; [unrolled: 1-line block ×4, first 2 shown]
	s_waitcnt vmcnt(0) lgkmcnt(0)
	s_barrier
	v_cmp_gt_u32_e32 vcc, 16, v108
	v_mul_f64 v[64:65], v[10:11], v[45:46]
	v_mul_f64 v[68:69], v[56:57], v[100:101]
	;; [unrolled: 1-line block ×20, first 2 shown]
	v_fma_f64 v[84:85], v[36:37], v[98:99], v[68:69]
	v_fma_f64 v[88:89], v[14:15], v[43:44], v[64:65]
	v_fma_f64 v[70:71], v[56:57], v[98:99], -v[70:71]
	v_fma_f64 v[56:57], v[74:75], v[98:99], -v[130:131]
	v_fma_f64 v[64:65], v[26:27], v[43:44], v[132:133]
	v_fma_f64 v[74:75], v[0:1], v[98:99], v[134:135]
	;; [unrolled: 1-line block ×4, first 2 shown]
	v_fma_f64 v[90:91], v[10:11], v[43:44], -v[66:67]
	v_fma_f64 v[92:93], v[60:61], v[43:44], -v[78:79]
	;; [unrolled: 1-line block ×3, first 2 shown]
	v_fma_f64 v[58:59], v[34:35], v[43:44], v[112:113]
	v_fma_f64 v[66:67], v[62:63], v[43:44], -v[118:119]
	v_fma_f64 v[62:63], v[28:29], v[98:99], v[120:121]
	v_fma_f64 v[60:61], v[24:25], v[43:44], v[124:125]
	;; [unrolled: 1-line block ×3, first 2 shown]
	v_fma_f64 v[10:11], v[72:73], v[98:99], -v[122:123]
	v_fma_f64 v[76:77], v[116:117], v[43:44], -v[45:46]
	;; [unrolled: 1-line block ×3, first 2 shown]
	v_add_f64 v[4:5], v[16:17], v[88:89]
	v_add_f64 v[14:15], v[88:89], v[84:85]
	;; [unrolled: 1-line block ×5, first 2 shown]
	v_fma_f64 v[72:73], v[114:115], v[43:44], -v[126:127]
	v_add_f64 v[42:43], v[60:61], v[68:69]
	v_add_f64 v[24:25], v[90:91], -v[70:71]
	v_add_f64 v[26:27], v[18:19], v[86:87]
	v_add_f64 v[32:33], v[20:21], v[58:59]
	;; [unrolled: 1-line block ×4, first 2 shown]
	v_add_f64 v[100:101], v[76:77], -v[0:1]
	v_add_f64 v[106:107], v[4:5], v[84:85]
	v_fma_f64 v[4:5], v[14:15], -0.5, v[16:17]
	v_fma_f64 v[12:13], v[98:99], -0.5, v[12:13]
	v_add_f64 v[30:31], v[92:93], -v[78:79]
	v_fma_f64 v[16:17], v[28:29], -0.5, v[18:19]
	v_add_f64 v[36:37], v[66:67], -v[10:11]
	;; [unrolled: 2-line block ×3, first 2 shown]
	v_fma_f64 v[22:23], v[42:43], -0.5, v[22:23]
	v_add_f64 v[14:15], v[26:27], v[82:83]
	v_add_f64 v[18:19], v[32:33], v[62:63]
	;; [unrolled: 1-line block ×4, first 2 shown]
	v_fma_f64 v[32:33], v[24:25], s[4:5], v[4:5]
	v_fma_f64 v[38:39], v[100:101], s[4:5], v[12:13]
	;; [unrolled: 1-line block ×9, first 2 shown]
	v_or_b32_e32 v12, v137, v136
	v_fma_f64 v[22:23], v[44:45], s[6:7], v[22:23]
	v_lshl_add_u32 v99, v12, 3, 0
	ds_write2_b64 v97, v[106:107], v[32:33] offset1:16
	ds_write_b64 v97, v[24:25] offset:256
	ds_write2_b64 v96, v[14:15], v[34:35] offset1:16
	ds_write_b64 v96, v[16:17] offset:256
	ds_write2_b64 v95, v[18:19], v[30:31] offset1:16
	ds_write_b64 v95, v[20:21] offset:256
	ds_write2_b64 v94, v[26:27], v[36:37] offset1:16
	ds_write_b64 v94, v[22:23] offset:256
	ds_write2_b64 v99, v[28:29], v[38:39] offset1:16
	ds_write_b64 v99, v[4:5] offset:256
	s_waitcnt lgkmcnt(0)
	s_barrier
	ds_read2_b64 v[12:15], v109 offset1:112
	ds_read2_b64 v[44:47], v41 offset0:112 offset1:224
	ds_read2_b64 v[40:43], v40 offset0:96 offset1:208
	;; [unrolled: 1-line block ×3, first 2 shown]
	v_add_u32_e32 v98, 0x1c00, v109
	v_add_u32_e32 v100, 0x2400, v109
	;; [unrolled: 1-line block ×3, first 2 shown]
	ds_read2_b64 v[28:31], v98 offset0:64 offset1:176
	ds_read2_b64 v[20:23], v100 offset0:48 offset1:160
	;; [unrolled: 1-line block ×3, first 2 shown]
                                        ; implicit-def: $vgpr80_vgpr81
                                        ; implicit-def: $vgpr26_vgpr27
                                        ; implicit-def: $vgpr38_vgpr39
	s_and_saveexec_b64 s[8:9], vcc
	s_cbranch_execz .LBB0_45
; %bb.44:
	v_add_u32_e32 v24, 0x1600, v109
	v_add_u32_e32 v4, 0x700, v109
	ds_read2_b64 v[36:39], v24 offset1:240
	v_add_u32_e32 v24, 0x2500, v109
	ds_read2_b64 v[4:7], v4 offset1:240
	ds_read2_b64 v[24:27], v24 offset1:240
	ds_read_b64 v[80:81], v109 offset:13312
.LBB0_45:
	s_or_b64 exec, exec, s[8:9]
	v_add_f64 v[106:107], v[90:91], v[70:71]
	v_add_f64 v[112:113], v[92:93], v[78:79]
	v_add_f64 v[82:83], v[86:87], -v[82:83]
	v_add_f64 v[86:87], v[66:67], v[10:11]
	v_add_f64 v[84:85], v[88:89], -v[84:85]
	v_add_f64 v[88:89], v[54:55], v[92:93]
	v_add_f64 v[92:93], v[72:73], v[56:57]
	;; [unrolled: 1-line block ×3, first 2 shown]
	v_fma_f64 v[52:53], v[106:107], -0.5, v[52:53]
	v_add_f64 v[106:107], v[76:77], v[0:1]
	v_fma_f64 v[54:55], v[112:113], -0.5, v[54:55]
	v_add_f64 v[66:67], v[48:49], v[66:67]
	v_fma_f64 v[48:49], v[86:87], -0.5, v[48:49]
	v_add_f64 v[58:59], v[58:59], -v[62:63]
	v_add_f64 v[62:63], v[50:51], v[72:73]
	v_fma_f64 v[50:51], v[92:93], -0.5, v[50:51]
	v_add_f64 v[60:61], v[60:61], -v[68:69]
	v_add_f64 v[70:71], v[90:91], v[70:71]
	v_add_f64 v[78:79], v[88:89], v[78:79]
	v_fma_f64 v[88:89], v[84:85], s[6:7], v[52:53]
	v_add_f64 v[68:69], v[8:9], v[76:77]
	v_fma_f64 v[8:9], v[106:107], -0.5, v[8:9]
	v_add_f64 v[64:65], v[64:65], -v[74:75]
	v_fma_f64 v[52:53], v[84:85], s[4:5], v[52:53]
	v_fma_f64 v[84:85], v[82:83], s[6:7], v[54:55]
	;; [unrolled: 1-line block ×3, first 2 shown]
	v_add_f64 v[10:11], v[66:67], v[10:11]
	v_fma_f64 v[66:67], v[58:59], s[6:7], v[48:49]
	v_fma_f64 v[48:49], v[58:59], s[4:5], v[48:49]
	v_add_f64 v[56:57], v[62:63], v[56:57]
	v_fma_f64 v[58:59], v[60:61], s[6:7], v[50:51]
	v_fma_f64 v[50:51], v[60:61], s[4:5], v[50:51]
	;; [unrolled: 3-line block ×3, first 2 shown]
	s_waitcnt lgkmcnt(0)
	s_barrier
	ds_write2_b64 v97, v[70:71], v[88:89] offset1:16
	ds_write_b64 v97, v[52:53] offset:256
	ds_write2_b64 v96, v[78:79], v[84:85] offset1:16
	ds_write_b64 v96, v[54:55] offset:256
	;; [unrolled: 2-line block ×5, first 2 shown]
	v_add_u32_e32 v48, 0x400, v109
	s_waitcnt lgkmcnt(0)
	s_barrier
	ds_read2_b64 v[76:79], v48 offset0:112 offset1:224
	v_add_u32_e32 v48, 0xc00, v109
	ds_read2_b64 v[72:75], v48 offset0:96 offset1:208
	v_add_u32_e32 v48, 0x1400, v109
	ds_read2_b64 v[8:11], v109 offset1:112
	ds_read2_b64 v[68:71], v48 offset0:80 offset1:192
	ds_read2_b64 v[64:67], v98 offset0:64 offset1:176
	;; [unrolled: 1-line block ×4, first 2 shown]
                                        ; implicit-def: $vgpr82_vgpr83
                                        ; implicit-def: $vgpr50_vgpr51
                                        ; implicit-def: $vgpr62_vgpr63
	s_and_saveexec_b64 s[4:5], vcc
	s_cbranch_execz .LBB0_47
; %bb.46:
	v_add_u32_e32 v48, 0x1600, v109
	v_add_u32_e32 v0, 0x700, v109
	ds_read2_b64 v[60:63], v48 offset1:240
	v_add_u32_e32 v48, 0x2500, v109
	ds_read2_b64 v[0:3], v0 offset1:240
	ds_read2_b64 v[48:51], v48 offset1:240
	ds_read_b64 v[82:83], v109 offset:13312
.LBB0_47:
	s_or_b64 exec, exec, s[4:5]
	s_movk_i32 s4, 0xab
	v_mul_lo_u16_sdwa v84, v108, s4 dst_sel:DWORD dst_unused:UNUSED_PAD src0_sel:BYTE_0 src1_sel:DWORD
	v_lshrrev_b16_e32 v100, 13, v84
	v_mul_lo_u16_e32 v84, 48, v100
	v_mul_lo_u16_sdwa v86, v110, s4 dst_sel:DWORD dst_unused:UNUSED_PAD src0_sel:BYTE_0 src1_sel:DWORD
	v_sub_u16_e32 v101, v108, v84
	v_mov_b32_e32 v84, 6
	v_lshrrev_b16_e32 v106, 13, v86
	v_mul_u32_u24_sdwa v85, v101, v84 dst_sel:DWORD dst_unused:UNUSED_PAD src0_sel:BYTE_0 src1_sel:DWORD
	v_mul_lo_u16_e32 v86, 48, v106
	v_lshlrev_b32_e32 v85, 4, v85
	v_sub_u16_e32 v107, v110, v86
	v_mul_u32_u24_sdwa v84, v107, v84 dst_sel:DWORD dst_unused:UNUSED_PAD src0_sel:BYTE_0 src1_sel:DWORD
	global_load_dwordx4 v[86:89], v85, s[12:13] offset:736
	v_lshlrev_b32_e32 v84, 4, v84
	global_load_dwordx4 v[90:93], v84, s[12:13] offset:736
	global_load_dwordx4 v[94:97], v85, s[12:13] offset:752
	;; [unrolled: 1-line block ×11, first 2 shown]
	s_mov_b32 s4, 0xaaab
	v_mul_u32_u24_sdwa v84, v111, s4 dst_sel:DWORD dst_unused:UNUSED_PAD src0_sel:WORD_0 src1_sel:DWORD
	v_lshrrev_b32_e32 v84, 21, v84
	v_mul_lo_u16_e32 v84, 48, v84
	v_sub_u16_e32 v204, v111, v84
	v_mul_u32_u24_e32 v84, 6, v204
	v_lshlrev_b32_e32 v84, 4, v84
	global_load_dwordx4 v[148:151], v84, s[12:13] offset:752
	global_load_dwordx4 v[152:155], v84, s[12:13] offset:768
	;; [unrolled: 1-line block ×6, first 2 shown]
	s_mov_b32 s6, 0x37e14327
	s_mov_b32 s4, 0x36b3c0b5
	;; [unrolled: 1-line block ×20, first 2 shown]
	s_waitcnt vmcnt(0) lgkmcnt(0)
	s_barrier
	v_mul_f64 v[98:99], v[78:79], v[92:93]
	v_mul_f64 v[92:93], v[46:47], v[92:93]
	;; [unrolled: 1-line block ×21, first 2 shown]
	v_fma_f64 v[84:85], v[44:45], v[86:87], v[84:85]
	v_fma_f64 v[88:89], v[76:77], v[86:87], -v[88:89]
	v_fma_f64 v[76:77], v[46:47], v[90:91], v[98:99]
	v_fma_f64 v[78:79], v[78:79], v[90:91], -v[92:93]
	;; [unrolled: 2-line block ×3, first 2 shown]
	v_fma_f64 v[96:97], v[64:65], v[124:125], -v[126:127]
	v_fma_f64 v[64:65], v[66:67], v[128:129], -v[130:131]
	v_fma_f64 v[66:67], v[20:21], v[132:133], v[184:185]
	v_fma_f64 v[98:99], v[16:17], v[136:137], v[188:189]
	v_mul_f64 v[186:187], v[58:59], v[142:143]
	v_mul_f64 v[142:143], v[22:23], v[142:143]
	;; [unrolled: 1-line block ×7, first 2 shown]
	v_fma_f64 v[72:73], v[42:43], v[112:113], v[174:175]
	v_fma_f64 v[74:75], v[74:75], v[112:113], -v[114:115]
	v_fma_f64 v[90:91], v[32:33], v[116:117], v[176:177]
	v_fma_f64 v[94:95], v[68:69], v[116:117], -v[118:119]
	v_fma_f64 v[68:69], v[70:71], v[120:121], -v[122:123]
	v_fma_f64 v[70:71], v[28:29], v[124:125], v[180:181]
	v_fma_f64 v[28:29], v[30:31], v[128:129], v[182:183]
	v_fma_f64 v[56:57], v[56:57], v[132:133], -v[134:135]
	v_fma_f64 v[30:31], v[36:37], v[148:149], v[192:193]
	v_fma_f64 v[36:37], v[60:61], v[148:149], -v[150:151]
	v_add_f64 v[60:61], v[84:85], v[98:99]
	v_add_f64 v[112:113], v[86:87], v[66:67]
	v_mul_f64 v[190:191], v[54:55], v[146:147]
	v_mul_f64 v[146:147], v[18:19], v[146:147]
	;; [unrolled: 1-line block ×8, first 2 shown]
	v_fma_f64 v[32:33], v[34:35], v[120:121], v[178:179]
	v_fma_f64 v[16:17], v[58:59], v[140:141], -v[142:143]
	v_fma_f64 v[58:59], v[52:53], v[136:137], -v[138:139]
	v_fma_f64 v[34:35], v[38:39], v[152:153], v[194:195]
	v_fma_f64 v[38:39], v[62:63], v[152:153], -v[154:155]
	v_fma_f64 v[40:41], v[24:25], v[156:157], v[196:197]
	v_fma_f64 v[44:45], v[26:27], v[160:161], v[198:199]
	v_add_f64 v[24:25], v[92:93], -v[56:57]
	v_add_f64 v[26:27], v[90:91], v[70:71]
	v_add_f64 v[62:63], v[96:97], -v[94:95]
	v_add_f64 v[114:115], v[112:113], v[60:61]
	v_fma_f64 v[20:21], v[22:23], v[140:141], v[186:187]
	v_fma_f64 v[22:23], v[54:55], v[144:145], -v[146:147]
	v_fma_f64 v[42:43], v[48:49], v[156:157], -v[158:159]
	;; [unrolled: 1-line block ×3, first 2 shown]
	v_fma_f64 v[46:47], v[6:7], v[164:165], v[200:201]
	v_fma_f64 v[52:53], v[2:3], v[164:165], -v[166:167]
	v_fma_f64 v[50:51], v[80:81], v[168:169], v[202:203]
	v_add_f64 v[2:3], v[88:89], -v[58:59]
	v_fma_f64 v[54:55], v[82:83], v[168:169], -v[170:171]
	v_add_f64 v[6:7], v[62:63], v[24:25]
	v_add_f64 v[80:81], v[26:27], v[114:115]
	v_add_f64 v[82:83], v[112:113], -v[60:61]
	v_add_f64 v[60:61], v[60:61], -v[26:27]
	;; [unrolled: 1-line block ×3, first 2 shown]
	v_fma_f64 v[18:19], v[18:19], v[144:145], v[190:191]
	v_add_f64 v[112:113], v[62:63], -v[24:25]
	v_add_f64 v[62:63], v[2:3], -v[62:63]
	;; [unrolled: 1-line block ×3, first 2 shown]
	v_add_f64 v[2:3], v[6:7], v[2:3]
	v_add_f64 v[6:7], v[12:13], v[80:81]
	v_mul_f64 v[12:13], v[60:61], s[6:7]
	v_mul_f64 v[60:61], v[26:27], s[4:5]
	v_add_f64 v[116:117], v[72:73], v[20:21]
	v_mul_f64 v[112:113], v[112:113], s[14:15]
	v_add_f64 v[120:121], v[74:75], -v[16:17]
	v_mul_f64 v[114:115], v[24:25], s[8:9]
	v_add_f64 v[122:123], v[78:79], -v[22:23]
	v_add_f64 v[126:127], v[64:65], -v[68:69]
	v_fma_f64 v[26:27], v[26:27], s[4:5], v[12:13]
	v_fma_f64 v[60:61], v[82:83], s[18:19], -v[60:61]
	v_fma_f64 v[12:13], v[82:83], s[20:21], -v[12:13]
	v_add_f64 v[82:83], v[76:77], v[18:19]
	v_fma_f64 v[118:119], v[62:63], s[22:23], v[112:113]
	v_fma_f64 v[24:25], v[24:25], s[8:9], -v[112:113]
	v_add_f64 v[112:113], v[32:33], v[28:29]
	v_fma_f64 v[62:63], v[62:63], s[24:25], -v[114:115]
	v_add_f64 v[130:131], v[120:121], -v[122:123]
	v_fma_f64 v[80:81], v[80:81], s[16:17], v[6:7]
	v_add_f64 v[124:125], v[116:117], v[82:83]
	v_fma_f64 v[118:119], v[2:3], s[26:27], v[118:119]
	v_fma_f64 v[24:25], v[2:3], s[26:27], v[24:25]
	v_add_f64 v[114:115], v[82:83], -v[112:113]
	v_add_f64 v[128:129], v[112:113], -v[116:117]
	;; [unrolled: 1-line block ×3, first 2 shown]
	v_add_f64 v[116:117], v[126:127], v[120:121]
	v_mul_f64 v[132:133], v[130:131], s[8:9]
	v_add_f64 v[112:113], v[112:113], v[124:125]
	v_add_f64 v[124:125], v[126:127], -v[120:121]
	v_add_f64 v[126:127], v[122:123], -v[126:127]
	v_mul_f64 v[114:115], v[114:115], s[6:7]
	v_mul_f64 v[120:121], v[128:129], s[4:5]
	v_add_f64 v[26:27], v[26:27], v[80:81]
	v_add_f64 v[60:61], v[60:61], v[80:81]
	;; [unrolled: 1-line block ×4, first 2 shown]
	v_mul_f64 v[124:125], v[124:125], s[14:15]
	v_add_f64 v[80:81], v[116:117], v[122:123]
	v_fma_f64 v[116:117], v[128:129], s[4:5], v[114:115]
	v_fma_f64 v[120:121], v[82:83], s[18:19], -v[120:121]
	v_fma_f64 v[82:83], v[82:83], s[20:21], -v[114:115]
	;; [unrolled: 1-line block ×3, first 2 shown]
	v_fma_f64 v[2:3], v[2:3], s[26:27], v[62:63]
	v_fma_f64 v[112:113], v[112:113], s[16:17], v[14:15]
	;; [unrolled: 1-line block ×3, first 2 shown]
	v_fma_f64 v[124:125], v[130:131], s[8:9], -v[124:125]
	v_add_f64 v[62:63], v[116:117], v[112:113]
	v_add_f64 v[116:117], v[120:121], v[112:113]
	;; [unrolled: 1-line block ×3, first 2 shown]
	v_fma_f64 v[112:113], v[80:81], s[26:27], v[122:123]
	v_fma_f64 v[120:121], v[80:81], s[26:27], v[124:125]
	;; [unrolled: 1-line block ×3, first 2 shown]
	v_add_f64 v[122:123], v[2:3], v[12:13]
	v_add_f64 v[2:3], v[12:13], -v[2:3]
	v_add_f64 v[12:13], v[118:119], v[26:27]
	v_add_f64 v[114:115], v[60:61], -v[24:25]
	;; [unrolled: 2-line block ×3, first 2 shown]
	v_add_f64 v[118:119], v[116:117], -v[120:121]
	v_add_f64 v[116:117], v[120:121], v[116:117]
	v_add_f64 v[120:121], v[80:81], v[82:83]
	v_add_f64 v[80:81], v[82:83], -v[80:81]
	v_add_f64 v[82:83], v[112:113], v[62:63]
	v_add_f64 v[112:113], v[62:63], -v[112:113]
	v_mov_b32_e32 v62, 3
	v_mul_u32_u24_e32 v60, 0xa80, v100
	v_lshlrev_b32_sdwa v61, v62, v101 dst_sel:DWORD dst_unused:UNUSED_PAD src0_sel:DWORD src1_sel:BYTE_0
	v_add3_u32 v61, 0, v60, v61
	ds_write2_b64 v61, v[6:7], v[12:13] offset1:48
	ds_write2_b64 v61, v[122:123], v[114:115] offset0:96 offset1:144
	ds_write2_b64 v61, v[24:25], v[2:3] offset0:192 offset1:240
	ds_write_b64 v61, v[26:27] offset:2304
	v_mul_u32_u24_e32 v2, 0xa80, v106
	v_lshlrev_b32_sdwa v3, v62, v107 dst_sel:DWORD dst_unused:UNUSED_PAD src0_sel:DWORD src1_sel:BYTE_0
	v_add3_u32 v62, 0, v2, v3
	v_lshl_add_u32 v60, v204, 3, 0
	ds_write2_b64 v62, v[14:15], v[82:83] offset1:48
	ds_write2_b64 v62, v[120:121], v[118:119] offset0:96 offset1:144
	ds_write2_b64 v62, v[116:117], v[80:81] offset0:192 offset1:240
	ds_write_b64 v62, v[112:113] offset:2304
	s_and_saveexec_b64 s[28:29], vcc
	s_cbranch_execz .LBB0_49
; %bb.48:
	v_add_f64 v[2:3], v[46:47], v[50:51]
	v_add_f64 v[6:7], v[30:31], v[44:45]
	v_add_f64 v[12:13], v[42:43], -v[38:39]
	v_add_f64 v[14:15], v[36:37], -v[48:49]
	v_add_f64 v[24:25], v[34:35], v[40:41]
	v_add_f64 v[26:27], v[52:53], -v[54:55]
	v_add_f64 v[80:81], v[6:7], v[2:3]
	v_add_f64 v[82:83], v[12:13], -v[14:15]
	v_add_f64 v[100:101], v[2:3], -v[24:25]
	;; [unrolled: 1-line block ×5, first 2 shown]
	v_add_f64 v[24:25], v[24:25], v[80:81]
	v_add_f64 v[80:81], v[26:27], -v[12:13]
	v_add_f64 v[12:13], v[12:13], v[14:15]
	v_mul_f64 v[6:7], v[82:83], s[14:15]
	v_mul_f64 v[14:15], v[100:101], s[6:7]
	;; [unrolled: 1-line block ×4, first 2 shown]
	v_add_f64 v[4:5], v[4:5], v[24:25]
	v_add_f64 v[12:13], v[12:13], v[26:27]
	v_fma_f64 v[26:27], v[80:81], s[22:23], v[6:7]
	v_fma_f64 v[114:115], v[2:3], s[20:21], -v[14:15]
	v_fma_f64 v[14:15], v[112:113], s[4:5], v[14:15]
	v_fma_f64 v[80:81], v[80:81], s[24:25], -v[82:83]
	v_fma_f64 v[6:7], v[106:107], s[8:9], -v[6:7]
	v_fma_f64 v[24:25], v[24:25], s[16:17], v[4:5]
	v_fma_f64 v[2:3], v[2:3], s[18:19], -v[100:101]
	v_fma_f64 v[26:27], v[12:13], s[26:27], v[26:27]
	v_fma_f64 v[80:81], v[12:13], s[26:27], v[80:81]
	v_fma_f64 v[6:7], v[12:13], s[26:27], v[6:7]
	v_add_f64 v[14:15], v[14:15], v[24:25]
	v_add_f64 v[12:13], v[114:115], v[24:25]
	;; [unrolled: 1-line block ×4, first 2 shown]
	v_add_f64 v[24:25], v[12:13], -v[80:81]
	v_add_f64 v[82:83], v[2:3], -v[6:7]
	v_add_f64 v[12:13], v[80:81], v[12:13]
	v_add_f64 v[2:3], v[6:7], v[2:3]
	v_add_f64 v[6:7], v[14:15], -v[26:27]
	v_add_u32_e32 v14, 0x2800, v60
	v_add_u32_e32 v15, 0x3000, v60
	ds_write2_b64 v14, v[4:5], v[100:101] offset0:64 offset1:112
	ds_write2_b64 v14, v[12:13], v[82:83] offset0:160 offset1:208
	ds_write2_b64 v15, v[2:3], v[24:25] offset1:48
	ds_write_b64 v60, v[6:7] offset:13056
.LBB0_49:
	s_or_b64 exec, exec, s[28:29]
	v_add_f64 v[2:3], v[88:89], v[58:59]
	v_add_f64 v[4:5], v[92:93], v[56:57]
	v_add_f64 v[12:13], v[86:87], -v[66:67]
	v_add_f64 v[14:15], v[94:95], v[96:97]
	v_add_f64 v[24:25], v[70:71], -v[90:91]
	v_add_f64 v[6:7], v[84:85], -v[98:99]
	;; [unrolled: 1-line block ×3, first 2 shown]
	v_add_f64 v[22:23], v[78:79], v[22:23]
	v_add_f64 v[16:17], v[74:75], v[16:17]
	;; [unrolled: 1-line block ×4, first 2 shown]
	v_add_f64 v[32:33], v[2:3], -v[14:15]
	v_add_f64 v[2:3], v[4:5], -v[2:3]
	v_add_f64 v[58:59], v[24:25], v[12:13]
	v_add_f64 v[18:19], v[76:77], -v[18:19]
	v_add_f64 v[20:21], v[72:73], -v[20:21]
	v_add_f64 v[65:66], v[16:17], v[22:23]
	v_add_f64 v[26:27], v[14:15], v[26:27]
	v_add_f64 v[14:15], v[14:15], -v[4:5]
	v_add_f64 v[4:5], v[24:25], -v[12:13]
	;; [unrolled: 1-line block ×4, first 2 shown]
	v_mul_f64 v[32:33], v[32:33], s[6:7]
	v_add_f64 v[6:7], v[58:59], v[6:7]
	v_add_f64 v[67:68], v[22:23], -v[56:57]
	v_add_f64 v[63:64], v[8:9], v[26:27]
	v_mul_f64 v[8:9], v[14:15], s[4:5]
	v_mul_f64 v[4:5], v[4:5], s[14:15]
	v_add_f64 v[69:70], v[56:57], -v[16:17]
	v_mul_f64 v[58:59], v[12:13], s[8:9]
	v_fma_f64 v[14:15], v[14:15], s[4:5], v[32:33]
	v_add_f64 v[56:57], v[56:57], v[65:66]
	v_add_f64 v[16:17], v[16:17], -v[22:23]
	v_fma_f64 v[26:27], v[26:27], s[16:17], v[63:64]
	v_fma_f64 v[8:9], v[2:3], s[18:19], -v[8:9]
	v_fma_f64 v[2:3], v[2:3], s[20:21], -v[32:33]
	v_fma_f64 v[32:33], v[24:25], s[22:23], v[4:5]
	v_fma_f64 v[4:5], v[12:13], s[8:9], -v[4:5]
	v_fma_f64 v[12:13], v[24:25], s[24:25], -v[58:59]
	v_add_f64 v[58:59], v[10:11], v[56:57]
	v_mul_f64 v[10:11], v[67:68], s[6:7]
	v_add_f64 v[14:15], v[14:15], v[26:27]
	v_add_f64 v[8:9], v[8:9], v[26:27]
	;; [unrolled: 1-line block ×3, first 2 shown]
	v_fma_f64 v[24:25], v[6:7], s[26:27], v[32:33]
	v_add_f64 v[26:27], v[28:29], -v[20:21]
	v_add_f64 v[32:33], v[20:21], -v[18:19]
	v_add_f64 v[20:21], v[28:29], v[20:21]
	v_mul_f64 v[22:23], v[69:70], s[4:5]
	v_add_f64 v[28:29], v[18:19], -v[28:29]
	v_fma_f64 v[4:5], v[6:7], s[26:27], v[4:5]
	v_fma_f64 v[6:7], v[6:7], s[26:27], v[12:13]
	v_add_f64 v[73:74], v[24:25], v[14:15]
	v_mul_f64 v[26:27], v[26:27], s[14:15]
	v_mul_f64 v[65:66], v[32:33], s[8:9]
	v_add_f64 v[18:19], v[20:21], v[18:19]
	v_fma_f64 v[20:21], v[56:57], s[16:17], v[58:59]
	v_fma_f64 v[56:57], v[69:70], s[4:5], v[10:11]
	v_fma_f64 v[22:23], v[16:17], s[18:19], -v[22:23]
	v_fma_f64 v[10:11], v[16:17], s[20:21], -v[10:11]
	v_add_f64 v[67:68], v[4:5], v[8:9]
	v_fma_f64 v[16:17], v[28:29], s[22:23], v[26:27]
	v_fma_f64 v[28:29], v[28:29], s[24:25], -v[65:66]
	v_fma_f64 v[26:27], v[32:33], s[8:9], -v[26:27]
	v_add_f64 v[65:66], v[14:15], -v[24:25]
	v_add_f64 v[12:13], v[56:57], v[20:21]
	v_add_f64 v[22:23], v[22:23], v[20:21]
	v_add_f64 v[10:11], v[10:11], v[20:21]
	v_add_f64 v[56:57], v[2:3], -v[6:7]
	v_fma_f64 v[16:17], v[18:19], s[26:27], v[16:17]
	v_fma_f64 v[20:21], v[18:19], s[26:27], v[28:29]
	;; [unrolled: 1-line block ×3, first 2 shown]
	s_waitcnt lgkmcnt(0)
	s_barrier
	v_add_f64 v[69:70], v[8:9], -v[4:5]
	v_add_f64 v[71:72], v[6:7], v[2:3]
	v_add_f64 v[75:76], v[12:13], -v[16:17]
	v_add_f64 v[77:78], v[10:11], -v[20:21]
	v_add_f64 v[83:84], v[20:21], v[10:11]
	v_add_u32_e32 v10, 0x1400, v109
	v_add_f64 v[85:86], v[16:17], v[12:13]
	ds_read2_b64 v[14:17], v10 offset0:32 offset1:144
	v_add_u32_e32 v10, 0x1800, v109
	v_add_f64 v[79:80], v[18:19], v[22:23]
	v_add_f64 v[81:82], v[22:23], -v[18:19]
	v_add_u32_e32 v6, 0x400, v109
	ds_read2_b64 v[18:21], v10 offset0:128 offset1:240
	v_add_u32_e32 v10, 0x2800, v109
	v_add_u32_e32 v22, 0xc00, v109
	;; [unrolled: 1-line block ×3, first 2 shown]
	ds_read2_b64 v[2:5], v109 offset1:112
	ds_read2_b64 v[6:9], v6 offset0:96 offset1:208
	ds_read2_b64 v[10:13], v10 offset0:64 offset1:176
	;; [unrolled: 1-line block ×4, first 2 shown]
	ds_read_b64 v[32:33], v109 offset:12544
	s_waitcnt lgkmcnt(0)
	s_barrier
	ds_write2_b64 v61, v[63:64], v[65:66] offset1:48
	ds_write2_b64 v61, v[56:57], v[67:68] offset0:96 offset1:144
	ds_write2_b64 v61, v[69:70], v[71:72] offset0:192 offset1:240
	ds_write_b64 v61, v[73:74] offset:2304
	ds_write2_b64 v62, v[58:59], v[75:76] offset1:48
	ds_write2_b64 v62, v[77:78], v[79:80] offset0:96 offset1:144
	ds_write2_b64 v62, v[81:82], v[83:84] offset0:192 offset1:240
	ds_write_b64 v62, v[85:86] offset:2304
	s_and_saveexec_b64 s[4:5], vcc
	s_cbranch_execz .LBB0_51
; %bb.50:
	v_add_f64 v[52:53], v[52:53], v[54:55]
	v_add_f64 v[36:37], v[36:37], v[48:49]
	;; [unrolled: 1-line block ×3, first 2 shown]
	v_add_f64 v[34:35], v[40:41], -v[34:35]
	v_add_f64 v[30:31], v[30:31], -v[44:45]
	v_add_f64 v[46:47], v[46:47], -v[50:51]
	s_mov_b32 s8, 0x36b3c0b5
	s_mov_b32 s9, 0x3fac98ee
	;; [unrolled: 1-line block ×3, first 2 shown]
	v_add_f64 v[40:41], v[36:37], v[52:53]
	v_add_f64 v[42:43], v[52:53], -v[38:39]
	s_mov_b32 s17, 0xbfebfeb5
	v_add_f64 v[44:45], v[34:35], v[30:31]
	v_add_f64 v[48:49], v[34:35], -v[30:31]
	v_add_f64 v[30:31], v[30:31], -v[46:47]
	;; [unrolled: 1-line block ×3, first 2 shown]
	s_mov_b32 s18, 0xaaaaaaaa
	v_add_f64 v[40:41], v[38:39], v[40:41]
	v_add_f64 v[38:39], v[38:39], -v[36:37]
	v_add_f64 v[36:37], v[36:37], -v[52:53]
	v_mul_f64 v[42:43], v[42:43], s[6:7]
	v_add_f64 v[44:45], v[44:45], v[46:47]
	v_mul_f64 v[46:47], v[48:49], s[14:15]
	v_mul_f64 v[48:49], v[30:31], s[16:17]
	s_mov_b32 s7, 0x3fe77f67
	v_add_f64 v[0:1], v[0:1], v[40:41]
	v_mul_f64 v[50:51], v[38:39], s[8:9]
	s_mov_b32 s6, 0x5476071b
	s_mov_b32 s19, 0xbff2aaaa
	v_fma_f64 v[38:39], v[38:39], s[8:9], v[42:43]
	v_fma_f64 v[30:31], v[30:31], s[16:17], -v[46:47]
	v_fma_f64 v[40:41], v[40:41], s[18:19], v[0:1]
	v_fma_f64 v[50:51], v[36:37], s[6:7], -v[50:51]
	s_mov_b32 s7, 0xbfe77f67
	v_fma_f64 v[36:37], v[36:37], s[6:7], -v[42:43]
	s_mov_b32 s7, 0xbfd5d0dc
	s_mov_b32 s6, 0xb247c609
	v_fma_f64 v[42:43], v[34:35], s[6:7], v[46:47]
	s_mov_b32 s7, 0x3fd5d0dc
	v_fma_f64 v[34:35], v[34:35], s[6:7], -v[48:49]
	s_mov_b32 s6, 0x37c3f68c
	s_mov_b32 s7, 0xbfdc38aa
	v_add_f64 v[38:39], v[38:39], v[40:41]
	v_add_f64 v[46:47], v[50:51], v[40:41]
	v_add_f64 v[36:37], v[36:37], v[40:41]
	v_fma_f64 v[40:41], v[44:45], s[6:7], v[42:43]
	v_fma_f64 v[30:31], v[44:45], s[6:7], v[30:31]
	;; [unrolled: 1-line block ×3, first 2 shown]
	v_add_f64 v[42:43], v[38:39], -v[40:41]
	v_add_f64 v[48:49], v[30:31], v[46:47]
	v_add_f64 v[44:45], v[36:37], -v[34:35]
	v_add_f64 v[30:31], v[46:47], -v[30:31]
	v_add_f64 v[34:35], v[34:35], v[36:37]
	v_add_f64 v[36:37], v[40:41], v[38:39]
	v_add_u32_e32 v38, 0x2800, v60
	ds_write2_b64 v38, v[0:1], v[42:43] offset0:64 offset1:112
	ds_write2_b64 v38, v[44:45], v[48:49] offset0:160 offset1:208
	v_add_u32_e32 v0, 0x3000, v60
	ds_write2_b64 v0, v[30:31], v[34:35] offset1:48
	ds_write_b64 v60, v[36:37] offset:13056
.LBB0_51:
	s_or_b64 exec, exec, s[4:5]
	s_waitcnt lgkmcnt(0)
	s_barrier
	s_and_saveexec_b64 s[4:5], s[0:1]
	s_cbranch_execz .LBB0_53
; %bb.52:
	v_lshlrev_b32_e32 v0, 2, v111
	v_mov_b32_e32 v1, 0
	v_lshlrev_b64 v[30:31], 4, v[0:1]
	v_mov_b32_e32 v78, s13
	v_add_co_u32_e32 v0, vcc, s12, v30
	v_addc_co_u32_e32 v42, vcc, v78, v31, vcc
	v_add_co_u32_e32 v30, vcc, 0x14e0, v0
	v_addc_co_u32_e32 v31, vcc, 0, v42, vcc
	;; [unrolled: 2-line block ×3, first 2 shown]
	global_load_dwordx4 v[34:37], v[30:31], off offset:32
	global_load_dwordx4 v[38:41], v[30:31], off offset:16
	;; [unrolled: 1-line block ×4, first 2 shown]
	v_add_u32_e32 v0, 0x1800, v109
	v_add_u32_e32 v54, 0xc00, v109
	;; [unrolled: 1-line block ×4, first 2 shown]
	ds_read_b64 v[82:83], v109 offset:12544
	ds_read2_b64 v[50:53], v0 offset0:128 offset1:240
	ds_read2_b64 v[54:57], v54 offset0:64 offset1:176
	;; [unrolled: 1-line block ×4, first 2 shown]
	v_lshlrev_b32_e32 v0, 2, v110
	v_lshlrev_b64 v[66:67], 4, v[0:1]
	v_lshlrev_b32_e32 v0, 2, v108
	v_lshlrev_b64 v[74:75], 4, v[0:1]
	v_add_co_u32_e32 v0, vcc, s12, v66
	s_movk_i32 s15, 0x14e0
	v_addc_co_u32_e32 v66, vcc, v78, v67, vcc
	v_mul_lo_u32 v68, s3, v104
	v_mul_lo_u32 v69, s2, v105
	v_mad_u64_u32 v[30:31], s[0:1], s2, v104, 0
	v_add_co_u32_e32 v84, vcc, s15, v0
	s_movk_i32 s13, 0x1000
	v_addc_co_u32_e32 v85, vcc, 0, v66, vcc
	v_add_co_u32_e32 v76, vcc, s13, v0
	v_addc_co_u32_e32 v77, vcc, 0, v66, vcc
	v_add3_u32 v31, v31, v69, v68
	global_load_dwordx4 v[66:69], v[76:77], off offset:1248
	global_load_dwordx4 v[70:73], v[84:85], off offset:48
	v_add_co_u32_e32 v0, vcc, s12, v74
	v_addc_co_u32_e32 v100, vcc, v78, v75, vcc
	global_load_dwordx4 v[74:77], v[84:85], off offset:32
	global_load_dwordx4 v[78:81], v[84:85], off offset:16
	s_mov_b32 s2, 0x134454ff
	s_mov_b32 s3, 0x3fee6f0e
	s_mov_b32 s9, 0xbfee6f0e
	s_mov_b32 s8, s2
	s_mov_b32 s4, 0x4755a5e
	s_mov_b32 s5, 0xbfe2cf23
	s_mov_b32 s7, 0x3fe2cf23
	s_mov_b32 s6, s4
	s_mov_b32 s0, 0x372fe950
	s_mov_b32 s1, 0x3fd3c6ef
	s_movk_i32 s14, 0x2000
	s_waitcnt vmcnt(7)
	v_mul_f64 v[86:87], v[28:29], v[36:37]
	s_waitcnt vmcnt(6)
	v_mul_f64 v[84:85], v[18:19], v[40:41]
	s_waitcnt lgkmcnt(1)
	v_mul_f64 v[36:37], v[60:61], v[36:37]
	s_waitcnt vmcnt(5)
	v_mul_f64 v[88:89], v[24:25], v[44:45]
	s_waitcnt vmcnt(4)
	v_mul_f64 v[90:91], v[32:33], v[48:49]
	v_mul_f64 v[44:45], v[56:57], v[44:45]
	;; [unrolled: 1-line block ×4, first 2 shown]
	v_fma_f64 v[60:61], v[34:35], v[60:61], -v[86:87]
	v_fma_f64 v[50:51], v[38:39], v[50:51], -v[84:85]
	v_fma_f64 v[94:95], v[28:29], v[34:35], v[36:37]
	v_fma_f64 v[28:29], v[42:43], v[56:57], -v[88:89]
	v_fma_f64 v[36:37], v[46:47], v[82:83], -v[90:91]
	v_fma_f64 v[56:57], v[24:25], v[42:43], v[44:45]
	v_fma_f64 v[90:91], v[32:33], v[46:47], v[48:49]
	;; [unrolled: 1-line block ×3, first 2 shown]
	v_add_co_u32_e32 v18, vcc, s13, v0
	v_add_f64 v[24:25], v[50:51], v[60:61]
	v_addc_co_u32_e32 v19, vcc, 0, v100, vcc
	v_add_f64 v[42:43], v[28:29], v[36:37]
	v_add_f64 v[48:49], v[56:57], v[90:91]
	global_load_dwordx4 v[32:35], v[18:19], off offset:1248
	v_add_f64 v[18:19], v[92:93], -v[94:95]
	v_add_f64 v[96:97], v[50:51], -v[60:61]
	;; [unrolled: 1-line block ×7, first 2 shown]
	s_waitcnt lgkmcnt(0)
	v_add_f64 v[84:85], v[28:29], v[62:63]
	v_fma_f64 v[24:25], v[24:25], -0.5, v[62:63]
	v_fma_f64 v[42:43], v[42:43], -0.5, v[62:63]
	v_add_f64 v[98:99], v[28:29], -v[36:37]
	v_fma_f64 v[28:29], v[48:49], -0.5, v[6:7]
	v_add_f64 v[86:87], v[92:93], -v[56:57]
	v_add_f64 v[88:89], v[94:95], -v[90:91]
	v_add_f64 v[40:41], v[38:39], v[40:41]
	v_add_f64 v[38:39], v[46:47], v[82:83]
	;; [unrolled: 1-line block ×3, first 2 shown]
	v_fma_f64 v[48:49], v[44:45], s[8:9], v[24:25]
	v_fma_f64 v[24:25], v[44:45], s[2:3], v[24:25]
	;; [unrolled: 1-line block ×6, first 2 shown]
	v_add_f64 v[82:83], v[86:87], v[88:89]
	v_add_f64 v[46:47], v[60:61], v[46:47]
	v_fma_f64 v[48:49], v[18:19], s[4:5], v[48:49]
	v_fma_f64 v[60:61], v[18:19], s[6:7], v[24:25]
	;; [unrolled: 1-line block ×6, first 2 shown]
	v_add_f64 v[84:85], v[92:93], v[94:95]
	v_add_f64 v[18:19], v[36:37], v[46:47]
	v_fma_f64 v[24:25], v[38:39], s[0:1], v[48:49]
	v_fma_f64 v[28:29], v[38:39], s[0:1], v[60:61]
	;; [unrolled: 1-line block ×6, first 2 shown]
	v_add_co_u32_e32 v82, vcc, s15, v0
	v_addc_co_u32_e32 v83, vcc, 0, v100, vcc
	global_load_dwordx4 v[44:47], v[82:83], off offset:48
	global_load_dwordx4 v[48:51], v[82:83], off offset:32
	;; [unrolled: 1-line block ×3, first 2 shown]
	v_add_f64 v[100:101], v[56:57], -v[92:93]
	v_add_f64 v[104:105], v[90:91], -v[94:95]
	s_waitcnt vmcnt(7)
	v_mul_f64 v[106:107], v[22:23], v[68:69]
	v_fma_f64 v[110:111], v[84:85], -0.5, v[6:7]
	s_waitcnt vmcnt(6)
	v_mul_f64 v[112:113], v[12:13], v[72:73]
	s_waitcnt vmcnt(5)
	v_mul_f64 v[114:115], v[58:59], v[76:77]
	v_add_u32_e32 v0, 0x1400, v109
	ds_read2_b64 v[82:85], v0 offset0:32 offset1:144
	v_add_u32_e32 v0, 0x2800, v109
	ds_read2_b64 v[86:89], v0 offset0:64 offset1:176
	v_add_f64 v[100:101], v[100:101], v[104:105]
	v_fma_f64 v[104:105], v[66:67], v[54:55], -v[106:107]
	s_waitcnt vmcnt(4) lgkmcnt(1)
	v_mul_f64 v[106:107], v[84:85], v[80:81]
	v_fma_f64 v[116:117], v[98:99], s[2:3], v[110:111]
	s_waitcnt lgkmcnt(0)
	v_fma_f64 v[112:113], v[70:71], v[88:89], -v[112:113]
	v_fma_f64 v[98:99], v[98:99], s[8:9], v[110:111]
	v_add_f64 v[6:7], v[6:7], v[56:57]
	v_mul_f64 v[80:81], v[16:17], v[80:81]
	v_mul_f64 v[76:77], v[26:27], v[76:77]
	v_fma_f64 v[110:111], v[26:27], v[74:75], v[114:115]
	v_mul_f64 v[26:27], v[54:55], v[68:69]
	v_mul_f64 v[68:69], v[88:89], v[72:73]
	v_fma_f64 v[106:107], v[16:17], v[78:79], v[106:107]
	v_add_f64 v[16:17], v[104:105], v[112:113]
	v_add_f64 v[6:7], v[92:93], v[6:7]
	v_fma_f64 v[72:73], v[78:79], v[84:85], -v[80:81]
	v_fma_f64 v[74:75], v[74:75], v[58:59], -v[76:77]
	ds_read2_b64 v[54:57], v109 offset1:112
	v_fma_f64 v[76:77], v[22:23], v[66:67], v[26:27]
	v_fma_f64 v[70:71], v[12:13], v[70:71], v[68:69]
	v_add_f64 v[58:59], v[106:107], -v[110:111]
	v_fma_f64 v[12:13], v[96:97], s[6:7], v[116:117]
	s_waitcnt lgkmcnt(0)
	v_fma_f64 v[16:17], v[16:17], -0.5, v[56:57]
	v_add_f64 v[6:7], v[6:7], v[94:95]
	v_add_f64 v[66:67], v[72:73], -v[104:105]
	v_add_f64 v[68:69], v[74:75], -v[112:113]
	v_add_f64 v[80:81], v[72:73], v[74:75]
	v_add_f64 v[88:89], v[76:77], v[70:71]
	v_add_f64 v[84:85], v[76:77], -v[70:71]
	v_fma_f64 v[22:23], v[100:101], s[0:1], v[12:13]
	v_fma_f64 v[78:79], v[58:59], s[2:3], v[16:17]
	;; [unrolled: 1-line block ×3, first 2 shown]
	v_add_f64 v[16:17], v[6:7], v[90:91]
	v_add_f64 v[6:7], v[66:67], v[68:69]
	v_fma_f64 v[66:67], v[80:81], -0.5, v[56:57]
	v_add_f64 v[56:57], v[104:105], v[56:57]
	v_fma_f64 v[80:81], v[88:89], -0.5, v[4:5]
	v_add_f64 v[88:89], v[72:73], -v[74:75]
	v_fma_f64 v[26:27], v[96:97], s[4:5], v[98:99]
	v_fma_f64 v[68:69], v[84:85], s[4:5], v[78:79]
	;; [unrolled: 1-line block ×3, first 2 shown]
	v_add_f64 v[78:79], v[104:105], -v[72:73]
	v_add_f64 v[90:91], v[112:113], -v[74:75]
	v_fma_f64 v[92:93], v[84:85], s[8:9], v[66:67]
	v_fma_f64 v[66:67], v[84:85], s[2:3], v[66:67]
	v_add_f64 v[56:57], v[72:73], v[56:57]
	v_add_f64 v[72:73], v[106:107], -v[76:77]
	v_add_f64 v[84:85], v[110:111], -v[70:71]
	;; [unrolled: 1-line block ×3, first 2 shown]
	v_fma_f64 v[96:97], v[88:89], s[8:9], v[80:81]
	v_fma_f64 v[80:81], v[88:89], s[2:3], v[80:81]
	v_add_f64 v[78:79], v[78:79], v[90:91]
	v_fma_f64 v[90:91], v[58:59], s[4:5], v[92:93]
	v_fma_f64 v[66:67], v[58:59], s[6:7], v[66:67]
	v_add_f64 v[56:57], v[74:75], v[56:57]
	v_add_f64 v[74:75], v[72:73], v[84:85]
	v_fma_f64 v[58:59], v[6:7], s[0:1], v[68:69]
	v_fma_f64 v[84:85], v[94:95], s[6:7], v[96:97]
	;; [unrolled: 1-line block ×6, first 2 shown]
	v_add_f64 v[72:73], v[112:113], v[56:57]
	s_waitcnt vmcnt(3)
	v_mul_f64 v[90:91], v[8:9], v[34:35]
	v_add_f64 v[78:79], v[106:107], v[110:111]
	v_fma_f64 v[56:57], v[74:75], s[0:1], v[84:85]
	v_fma_f64 v[66:67], v[74:75], s[0:1], v[80:81]
	s_waitcnt vmcnt(2)
	v_mul_f64 v[74:75], v[10:11], v[46:47]
	s_waitcnt vmcnt(1)
	v_mul_f64 v[92:93], v[20:21], v[50:51]
	;; [unrolled: 2-line block ×3, first 2 shown]
	v_mul_f64 v[50:51], v[52:53], v[50:51]
	v_fma_f64 v[90:91], v[32:33], v[64:65], -v[90:91]
	v_mul_f64 v[62:63], v[82:83], v[62:63]
	v_fma_f64 v[78:79], v[78:79], -0.5, v[4:5]
	v_mul_f64 v[34:35], v[64:65], v[34:35]
	v_fma_f64 v[74:75], v[44:45], v[86:87], -v[74:75]
	v_mul_f64 v[46:47], v[86:87], v[46:47]
	v_fma_f64 v[80:81], v[60:61], v[82:83], -v[80:81]
	v_fma_f64 v[52:53], v[48:49], v[52:53], -v[92:93]
	v_fma_f64 v[20:21], v[20:21], v[48:49], v[50:51]
	v_fma_f64 v[14:15], v[14:15], v[60:61], v[62:63]
	v_add_f64 v[84:85], v[76:77], -v[106:107]
	v_add_f64 v[64:65], v[70:71], -v[110:111]
	v_add_f64 v[48:49], v[90:91], v[74:75]
	v_fma_f64 v[50:51], v[94:95], s[2:3], v[78:79]
	v_fma_f64 v[8:9], v[8:9], v[32:33], v[34:35]
	;; [unrolled: 1-line block ×3, first 2 shown]
	v_add_f64 v[10:11], v[80:81], v[52:53]
	v_add_f64 v[4:5], v[4:5], v[76:77]
	v_add_f64 v[44:45], v[14:15], -v[20:21]
	v_add_f64 v[32:33], v[84:85], v[64:65]
	v_fma_f64 v[34:35], v[48:49], -0.5, v[54:55]
	v_fma_f64 v[48:49], v[94:95], s[8:9], v[78:79]
	v_fma_f64 v[46:47], v[88:89], s[6:7], v[50:51]
	v_add_f64 v[50:51], v[8:9], -v[60:61]
	v_fma_f64 v[62:63], v[10:11], -0.5, v[54:55]
	v_add_f64 v[10:11], v[106:107], v[4:5]
	v_add_f64 v[64:65], v[80:81], -v[90:91]
	v_add_f64 v[76:77], v[52:53], -v[74:75]
	v_fma_f64 v[78:79], v[44:45], s[2:3], v[34:35]
	v_fma_f64 v[48:49], v[88:89], s[4:5], v[48:49]
	;; [unrolled: 1-line block ×5, first 2 shown]
	v_add_f64 v[46:47], v[10:11], v[110:111]
	v_add_f64 v[82:83], v[90:91], -v[80:81]
	v_add_f64 v[84:85], v[74:75], -v[52:53]
	v_add_f64 v[64:65], v[64:65], v[76:77]
	v_fma_f64 v[10:11], v[32:33], s[0:1], v[48:49]
	v_add_f64 v[32:33], v[90:91], v[54:55]
	v_add_f64 v[48:49], v[8:9], v[60:61]
	v_fma_f64 v[54:55], v[50:51], s[2:3], v[62:63]
	v_add_f64 v[62:63], v[14:15], v[20:21]
	v_fma_f64 v[76:77], v[50:51], s[4:5], v[78:79]
	v_fma_f64 v[78:79], v[50:51], s[6:7], v[34:35]
	v_add_f64 v[82:83], v[82:83], v[84:85]
	v_fma_f64 v[84:85], v[44:45], s[4:5], v[86:87]
	v_add_f64 v[70:71], v[46:47], v[70:71]
	v_fma_f64 v[48:49], v[48:49], -0.5, v[2:3]
	v_add_f64 v[32:33], v[80:81], v[32:33]
	v_fma_f64 v[62:63], v[62:63], -0.5, v[2:3]
	v_add_f64 v[2:3], v[2:3], v[8:9]
	v_fma_f64 v[34:35], v[64:65], s[0:1], v[76:77]
	v_fma_f64 v[46:47], v[64:65], s[0:1], v[78:79]
	v_add_f64 v[64:65], v[80:81], -v[52:53]
	v_add_f64 v[76:77], v[14:15], -v[8:9]
	;; [unrolled: 1-line block ×3, first 2 shown]
	v_fma_f64 v[44:45], v[44:45], s[6:7], v[54:55]
	v_add_f64 v[54:55], v[90:91], -v[74:75]
	v_add_f64 v[2:3], v[14:15], v[2:3]
	v_fma_f64 v[50:51], v[82:83], s[0:1], v[84:85]
	v_add_f64 v[32:33], v[52:53], v[32:33]
	v_fma_f64 v[52:53], v[64:65], s[8:9], v[48:49]
	v_fma_f64 v[48:49], v[64:65], s[2:3], v[48:49]
	v_add_f64 v[76:77], v[76:77], v[78:79]
	v_add_f64 v[8:9], v[8:9], -v[14:15]
	v_add_f64 v[78:79], v[60:61], -v[20:21]
	v_fma_f64 v[80:81], v[54:55], s[2:3], v[62:63]
	v_fma_f64 v[84:85], v[54:55], s[8:9], v[62:63]
	v_add_f64 v[2:3], v[2:3], v[20:21]
	v_fma_f64 v[14:15], v[54:55], s[6:7], v[52:53]
	v_fma_f64 v[48:49], v[54:55], s[4:5], v[48:49]
	v_lshrrev_b32_e32 v0, 4, v108
	s_mov_b32 s2, 0x18618619
	v_add_f64 v[8:9], v[8:9], v[78:79]
	v_fma_f64 v[52:53], v[64:65], s[6:7], v[80:81]
	v_fma_f64 v[64:65], v[64:65], s[4:5], v[84:85]
	v_mul_hi_u32 v0, v0, s2
	v_add_f64 v[60:61], v[2:3], v[60:61]
	v_lshlrev_b64 v[2:3], 4, v[30:31]
	v_fma_f64 v[54:55], v[82:83], s[0:1], v[44:45]
	v_fma_f64 v[44:45], v[76:77], s[0:1], v[48:49]
	v_lshrrev_b32_e32 v0, 1, v0
	v_fma_f64 v[48:49], v[8:9], s[0:1], v[52:53]
	v_fma_f64 v[52:53], v[8:9], s[0:1], v[64:65]
	v_mov_b32_e32 v8, s11
	v_add_co_u32_e32 v9, vcc, s10, v2
	v_addc_co_u32_e32 v8, vcc, v8, v3, vcc
	v_lshlrev_b64 v[2:3], 4, v[102:103]
	v_mul_u32_u24_e32 v0, 0x150, v0
	v_add_f64 v[62:63], v[74:75], v[32:33]
	v_fma_f64 v[32:33], v[76:77], s[0:1], v[14:15]
	v_sub_u32_e32 v0, v108, v0
	v_add_co_u32_e32 v14, vcc, v9, v2
	v_addc_co_u32_e32 v15, vcc, v8, v3, vcc
	v_lshlrev_b32_e32 v0, 4, v0
	v_add_co_u32_e32 v2, vcc, v14, v0
	v_addc_co_u32_e32 v3, vcc, 0, v15, vcc
	v_add_co_u32_e32 v8, vcc, s13, v2
	v_addc_co_u32_e32 v9, vcc, 0, v3, vcc
	global_store_dwordx4 v[8:9], v[52:55], off offset:1280
	v_add_co_u32_e32 v8, vcc, s14, v2
	v_fma_f64 v[26:27], v[100:101], s[0:1], v[26:27]
	v_addc_co_u32_e32 v9, vcc, 0, v3, vcc
	s_movk_i32 s0, 0x3000
	global_store_dwordx4 v[8:9], v[44:47], off offset:2560
	v_add_co_u32_e32 v8, vcc, s0, v2
	v_addc_co_u32_e32 v9, vcc, 0, v3, vcc
	v_add_u32_e32 v0, 0x70, v108
	global_store_dwordx4 v[8:9], v[32:35], off offset:3840
	v_lshrrev_b32_e32 v8, 4, v0
	v_mul_hi_u32 v8, v8, s2
	s_movk_i32 s0, 0x5000
	global_store_dwordx4 v[2:3], v[60:63], off
	v_add_co_u32_e32 v2, vcc, s0, v2
	v_addc_co_u32_e32 v3, vcc, 0, v3, vcc
	global_store_dwordx4 v[2:3], v[48:51], off offset:1024
	v_lshrrev_b32_e32 v2, 1, v8
	v_mul_u32_u24_e32 v3, 0x150, v2
	v_sub_u32_e32 v0, v0, v3
	s_movk_i32 s0, 0x690
	v_mad_u32_u24 v0, v2, s0, v0
	v_lshlrev_b64 v[2:3], 4, v[0:1]
	v_add_co_u32_e32 v2, vcc, v14, v2
	v_addc_co_u32_e32 v3, vcc, v15, v3, vcc
	global_store_dwordx4 v[2:3], v[70:73], off
	v_add_u32_e32 v2, 0x150, v0
	v_mov_b32_e32 v3, v1
	v_lshlrev_b64 v[2:3], 4, v[2:3]
	v_add_co_u32_e32 v2, vcc, v14, v2
	v_addc_co_u32_e32 v3, vcc, v15, v3, vcc
	global_store_dwordx4 v[2:3], v[10:13], off
	v_add_u32_e32 v2, 0x2a0, v0
	v_mov_b32_e32 v3, v1
	;; [unrolled: 6-line block ×3, first 2 shown]
	v_lshlrev_b64 v[2:3], 4, v[2:3]
	v_add_u32_e32 v0, 0x540, v0
	v_add_co_u32_e32 v2, vcc, v14, v2
	v_addc_co_u32_e32 v3, vcc, v15, v3, vcc
	global_store_dwordx4 v[2:3], v[56:59], off
	v_lshlrev_b64 v[2:3], 4, v[0:1]
	v_add_u32_e32 v0, 0xe0, v108
	v_lshrrev_b32_e32 v8, 4, v0
	v_mul_hi_u32 v8, v8, s2
	v_add_co_u32_e32 v2, vcc, v14, v2
	v_addc_co_u32_e32 v3, vcc, v15, v3, vcc
	global_store_dwordx4 v[2:3], v[4:7], off
	v_lshrrev_b32_e32 v2, 1, v8
	v_mul_u32_u24_e32 v3, 0x150, v2
	v_sub_u32_e32 v0, v0, v3
	v_mad_u32_u24 v0, v2, s0, v0
	v_lshlrev_b64 v[2:3], 4, v[0:1]
	v_add_co_u32_e32 v2, vcc, v14, v2
	v_addc_co_u32_e32 v3, vcc, v15, v3, vcc
	global_store_dwordx4 v[2:3], v[16:19], off
	v_add_u32_e32 v2, 0x150, v0
	v_mov_b32_e32 v3, v1
	v_lshlrev_b64 v[2:3], 4, v[2:3]
	v_add_co_u32_e32 v2, vcc, v14, v2
	v_addc_co_u32_e32 v3, vcc, v15, v3, vcc
	global_store_dwordx4 v[2:3], v[26:29], off
	v_add_u32_e32 v2, 0x2a0, v0
	v_mov_b32_e32 v3, v1
	;; [unrolled: 6-line block ×3, first 2 shown]
	v_lshlrev_b64 v[2:3], 4, v[2:3]
	v_add_u32_e32 v0, 0x540, v0
	v_add_co_u32_e32 v2, vcc, v14, v2
	v_lshlrev_b64 v[0:1], 4, v[0:1]
	v_addc_co_u32_e32 v3, vcc, v15, v3, vcc
	v_add_co_u32_e32 v0, vcc, v14, v0
	v_addc_co_u32_e32 v1, vcc, v15, v1, vcc
	global_store_dwordx4 v[2:3], v[36:39], off
	global_store_dwordx4 v[0:1], v[22:25], off
.LBB0_53:
	s_endpgm
	.section	.rodata,"a",@progbits
	.p2align	6, 0x0
	.amdhsa_kernel fft_rtc_back_len1680_factors_2_2_2_2_3_7_5_wgs_112_tpt_112_halfLds_dp_op_CI_CI_unitstride_sbrr_dirReg
		.amdhsa_group_segment_fixed_size 0
		.amdhsa_private_segment_fixed_size 0
		.amdhsa_kernarg_size 104
		.amdhsa_user_sgpr_count 6
		.amdhsa_user_sgpr_private_segment_buffer 1
		.amdhsa_user_sgpr_dispatch_ptr 0
		.amdhsa_user_sgpr_queue_ptr 0
		.amdhsa_user_sgpr_kernarg_segment_ptr 1
		.amdhsa_user_sgpr_dispatch_id 0
		.amdhsa_user_sgpr_flat_scratch_init 0
		.amdhsa_user_sgpr_private_segment_size 0
		.amdhsa_uses_dynamic_stack 0
		.amdhsa_system_sgpr_private_segment_wavefront_offset 0
		.amdhsa_system_sgpr_workgroup_id_x 1
		.amdhsa_system_sgpr_workgroup_id_y 0
		.amdhsa_system_sgpr_workgroup_id_z 0
		.amdhsa_system_sgpr_workgroup_info 0
		.amdhsa_system_vgpr_workitem_id 0
		.amdhsa_next_free_vgpr 205
		.amdhsa_next_free_sgpr 30
		.amdhsa_reserve_vcc 1
		.amdhsa_reserve_flat_scratch 0
		.amdhsa_float_round_mode_32 0
		.amdhsa_float_round_mode_16_64 0
		.amdhsa_float_denorm_mode_32 3
		.amdhsa_float_denorm_mode_16_64 3
		.amdhsa_dx10_clamp 1
		.amdhsa_ieee_mode 1
		.amdhsa_fp16_overflow 0
		.amdhsa_exception_fp_ieee_invalid_op 0
		.amdhsa_exception_fp_denorm_src 0
		.amdhsa_exception_fp_ieee_div_zero 0
		.amdhsa_exception_fp_ieee_overflow 0
		.amdhsa_exception_fp_ieee_underflow 0
		.amdhsa_exception_fp_ieee_inexact 0
		.amdhsa_exception_int_div_zero 0
	.end_amdhsa_kernel
	.text
.Lfunc_end0:
	.size	fft_rtc_back_len1680_factors_2_2_2_2_3_7_5_wgs_112_tpt_112_halfLds_dp_op_CI_CI_unitstride_sbrr_dirReg, .Lfunc_end0-fft_rtc_back_len1680_factors_2_2_2_2_3_7_5_wgs_112_tpt_112_halfLds_dp_op_CI_CI_unitstride_sbrr_dirReg
                                        ; -- End function
	.section	.AMDGPU.csdata,"",@progbits
; Kernel info:
; codeLenInByte = 13588
; NumSgprs: 34
; NumVgprs: 205
; ScratchSize: 0
; MemoryBound: 1
; FloatMode: 240
; IeeeMode: 1
; LDSByteSize: 0 bytes/workgroup (compile time only)
; SGPRBlocks: 4
; VGPRBlocks: 51
; NumSGPRsForWavesPerEU: 34
; NumVGPRsForWavesPerEU: 205
; Occupancy: 1
; WaveLimiterHint : 1
; COMPUTE_PGM_RSRC2:SCRATCH_EN: 0
; COMPUTE_PGM_RSRC2:USER_SGPR: 6
; COMPUTE_PGM_RSRC2:TRAP_HANDLER: 0
; COMPUTE_PGM_RSRC2:TGID_X_EN: 1
; COMPUTE_PGM_RSRC2:TGID_Y_EN: 0
; COMPUTE_PGM_RSRC2:TGID_Z_EN: 0
; COMPUTE_PGM_RSRC2:TIDIG_COMP_CNT: 0
	.type	__hip_cuid_1d406662b33a6e63,@object ; @__hip_cuid_1d406662b33a6e63
	.section	.bss,"aw",@nobits
	.globl	__hip_cuid_1d406662b33a6e63
__hip_cuid_1d406662b33a6e63:
	.byte	0                               ; 0x0
	.size	__hip_cuid_1d406662b33a6e63, 1

	.ident	"AMD clang version 19.0.0git (https://github.com/RadeonOpenCompute/llvm-project roc-6.4.0 25133 c7fe45cf4b819c5991fe208aaa96edf142730f1d)"
	.section	".note.GNU-stack","",@progbits
	.addrsig
	.addrsig_sym __hip_cuid_1d406662b33a6e63
	.amdgpu_metadata
---
amdhsa.kernels:
  - .args:
      - .actual_access:  read_only
        .address_space:  global
        .offset:         0
        .size:           8
        .value_kind:     global_buffer
      - .offset:         8
        .size:           8
        .value_kind:     by_value
      - .actual_access:  read_only
        .address_space:  global
        .offset:         16
        .size:           8
        .value_kind:     global_buffer
      - .actual_access:  read_only
        .address_space:  global
        .offset:         24
        .size:           8
        .value_kind:     global_buffer
      - .actual_access:  read_only
        .address_space:  global
        .offset:         32
        .size:           8
        .value_kind:     global_buffer
      - .offset:         40
        .size:           8
        .value_kind:     by_value
      - .actual_access:  read_only
        .address_space:  global
        .offset:         48
        .size:           8
        .value_kind:     global_buffer
      - .actual_access:  read_only
        .address_space:  global
        .offset:         56
        .size:           8
        .value_kind:     global_buffer
      - .offset:         64
        .size:           4
        .value_kind:     by_value
      - .actual_access:  read_only
        .address_space:  global
        .offset:         72
        .size:           8
        .value_kind:     global_buffer
      - .actual_access:  read_only
        .address_space:  global
        .offset:         80
        .size:           8
        .value_kind:     global_buffer
      - .actual_access:  read_only
        .address_space:  global
        .offset:         88
        .size:           8
        .value_kind:     global_buffer
      - .actual_access:  write_only
        .address_space:  global
        .offset:         96
        .size:           8
        .value_kind:     global_buffer
    .group_segment_fixed_size: 0
    .kernarg_segment_align: 8
    .kernarg_segment_size: 104
    .language:       OpenCL C
    .language_version:
      - 2
      - 0
    .max_flat_workgroup_size: 112
    .name:           fft_rtc_back_len1680_factors_2_2_2_2_3_7_5_wgs_112_tpt_112_halfLds_dp_op_CI_CI_unitstride_sbrr_dirReg
    .private_segment_fixed_size: 0
    .sgpr_count:     34
    .sgpr_spill_count: 0
    .symbol:         fft_rtc_back_len1680_factors_2_2_2_2_3_7_5_wgs_112_tpt_112_halfLds_dp_op_CI_CI_unitstride_sbrr_dirReg.kd
    .uniform_work_group_size: 1
    .uses_dynamic_stack: false
    .vgpr_count:     205
    .vgpr_spill_count: 0
    .wavefront_size: 64
amdhsa.target:   amdgcn-amd-amdhsa--gfx906
amdhsa.version:
  - 1
  - 2
...

	.end_amdgpu_metadata
